;; amdgpu-corpus repo=ROCm/rocFFT kind=compiled arch=gfx950 opt=O3
	.text
	.amdgcn_target "amdgcn-amd-amdhsa--gfx950"
	.amdhsa_code_object_version 6
	.protected	fft_rtc_fwd_len1936_factors_2_2_4_11_11_wgs_176_tpt_176_sp_ip_CI_unitstride_sbrr_R2C_dirReg ; -- Begin function fft_rtc_fwd_len1936_factors_2_2_4_11_11_wgs_176_tpt_176_sp_ip_CI_unitstride_sbrr_R2C_dirReg
	.globl	fft_rtc_fwd_len1936_factors_2_2_4_11_11_wgs_176_tpt_176_sp_ip_CI_unitstride_sbrr_R2C_dirReg
	.p2align	8
	.type	fft_rtc_fwd_len1936_factors_2_2_4_11_11_wgs_176_tpt_176_sp_ip_CI_unitstride_sbrr_R2C_dirReg,@function
fft_rtc_fwd_len1936_factors_2_2_4_11_11_wgs_176_tpt_176_sp_ip_CI_unitstride_sbrr_R2C_dirReg: ; @fft_rtc_fwd_len1936_factors_2_2_4_11_11_wgs_176_tpt_176_sp_ip_CI_unitstride_sbrr_R2C_dirReg
; %bb.0:
	s_load_dwordx2 s[8:9], s[0:1], 0x50
	s_load_dwordx4 s[4:7], s[0:1], 0x0
	s_load_dwordx2 s[10:11], s[0:1], 0x18
	v_mul_u32_u24_e32 v1, 0x175, v0
	v_add_u32_sdwa v6, s2, v1 dst_sel:DWORD dst_unused:UNUSED_PAD src0_sel:DWORD src1_sel:WORD_1
	v_mov_b32_e32 v4, 0
	s_waitcnt lgkmcnt(0)
	v_cmp_lt_u64_e64 s[2:3], s[6:7], 2
	v_mov_b32_e32 v7, v4
	s_and_b64 vcc, exec, s[2:3]
	v_mov_b64_e32 v[2:3], 0
	s_cbranch_vccnz .LBB0_8
; %bb.1:
	s_load_dwordx2 s[2:3], s[0:1], 0x10
	s_add_u32 s12, s10, 8
	s_addc_u32 s13, s11, 0
	s_mov_b64 s[14:15], 1
	v_mov_b64_e32 v[2:3], 0
	s_waitcnt lgkmcnt(0)
	s_add_u32 s16, s2, 8
	s_addc_u32 s17, s3, 0
.LBB0_2:                                ; =>This Inner Loop Header: Depth=1
	s_load_dwordx2 s[18:19], s[16:17], 0x0
                                        ; implicit-def: $vgpr8_vgpr9
	s_waitcnt lgkmcnt(0)
	v_or_b32_e32 v5, s19, v7
	v_cmp_ne_u64_e32 vcc, 0, v[4:5]
	s_and_saveexec_b64 s[2:3], vcc
	s_xor_b64 s[20:21], exec, s[2:3]
	s_cbranch_execz .LBB0_4
; %bb.3:                                ;   in Loop: Header=BB0_2 Depth=1
	v_cvt_f32_u32_e32 v1, s18
	v_cvt_f32_u32_e32 v5, s19
	s_sub_u32 s2, 0, s18
	s_subb_u32 s3, 0, s19
	v_fmac_f32_e32 v1, 0x4f800000, v5
	v_rcp_f32_e32 v1, v1
	s_nop 0
	v_mul_f32_e32 v1, 0x5f7ffffc, v1
	v_mul_f32_e32 v5, 0x2f800000, v1
	v_trunc_f32_e32 v5, v5
	v_fmac_f32_e32 v1, 0xcf800000, v5
	v_cvt_u32_f32_e32 v5, v5
	v_cvt_u32_f32_e32 v1, v1
	v_mul_lo_u32 v8, s2, v5
	v_mul_hi_u32 v10, s2, v1
	v_mul_lo_u32 v9, s3, v1
	v_add_u32_e32 v10, v10, v8
	v_mul_lo_u32 v12, s2, v1
	v_add_u32_e32 v13, v10, v9
	v_mul_hi_u32 v8, v1, v12
	v_mul_hi_u32 v11, v1, v13
	v_mul_lo_u32 v10, v1, v13
	v_mov_b32_e32 v9, v4
	v_lshl_add_u64 v[8:9], v[8:9], 0, v[10:11]
	v_mul_hi_u32 v11, v5, v12
	v_mul_lo_u32 v12, v5, v12
	v_add_co_u32_e32 v8, vcc, v8, v12
	v_mul_hi_u32 v10, v5, v13
	s_nop 0
	v_addc_co_u32_e32 v8, vcc, v9, v11, vcc
	v_mov_b32_e32 v9, v4
	s_nop 0
	v_addc_co_u32_e32 v11, vcc, 0, v10, vcc
	v_mul_lo_u32 v10, v5, v13
	v_lshl_add_u64 v[8:9], v[8:9], 0, v[10:11]
	v_add_co_u32_e32 v1, vcc, v1, v8
	v_mul_lo_u32 v10, s2, v1
	s_nop 0
	v_addc_co_u32_e32 v5, vcc, v5, v9, vcc
	v_mul_lo_u32 v8, s2, v5
	v_mul_hi_u32 v9, s2, v1
	v_add_u32_e32 v8, v9, v8
	v_mul_lo_u32 v9, s3, v1
	v_add_u32_e32 v12, v8, v9
	v_mul_hi_u32 v14, v5, v10
	v_mul_lo_u32 v15, v5, v10
	v_mul_hi_u32 v9, v1, v12
	v_mul_lo_u32 v8, v1, v12
	v_mul_hi_u32 v10, v1, v10
	v_mov_b32_e32 v11, v4
	v_lshl_add_u64 v[8:9], v[10:11], 0, v[8:9]
	v_add_co_u32_e32 v8, vcc, v8, v15
	v_mul_hi_u32 v13, v5, v12
	s_nop 0
	v_addc_co_u32_e32 v8, vcc, v9, v14, vcc
	v_mul_lo_u32 v10, v5, v12
	s_nop 0
	v_addc_co_u32_e32 v11, vcc, 0, v13, vcc
	v_mov_b32_e32 v9, v4
	v_lshl_add_u64 v[8:9], v[8:9], 0, v[10:11]
	v_add_co_u32_e32 v1, vcc, v1, v8
	v_mul_hi_u32 v10, v6, v1
	s_nop 0
	v_addc_co_u32_e32 v5, vcc, v5, v9, vcc
	v_mad_u64_u32 v[8:9], s[2:3], v6, v5, 0
	v_mov_b32_e32 v11, v4
	v_lshl_add_u64 v[8:9], v[10:11], 0, v[8:9]
	v_mad_u64_u32 v[12:13], s[2:3], v7, v1, 0
	v_add_co_u32_e32 v1, vcc, v8, v12
	v_mad_u64_u32 v[10:11], s[2:3], v7, v5, 0
	s_nop 0
	v_addc_co_u32_e32 v8, vcc, v9, v13, vcc
	v_mov_b32_e32 v9, v4
	s_nop 0
	v_addc_co_u32_e32 v11, vcc, 0, v11, vcc
	v_lshl_add_u64 v[8:9], v[8:9], 0, v[10:11]
	v_mul_lo_u32 v1, s19, v8
	v_mul_lo_u32 v5, s18, v9
	v_mad_u64_u32 v[10:11], s[2:3], s18, v8, 0
	v_add3_u32 v1, v11, v5, v1
	v_sub_u32_e32 v5, v7, v1
	v_mov_b32_e32 v11, s19
	v_sub_co_u32_e32 v14, vcc, v6, v10
	v_lshl_add_u64 v[12:13], v[8:9], 0, 1
	s_nop 0
	v_subb_co_u32_e64 v5, s[2:3], v5, v11, vcc
	v_subrev_co_u32_e64 v10, s[2:3], s18, v14
	v_subb_co_u32_e32 v1, vcc, v7, v1, vcc
	s_nop 0
	v_subbrev_co_u32_e64 v5, s[2:3], 0, v5, s[2:3]
	v_cmp_le_u32_e64 s[2:3], s19, v5
	v_cmp_le_u32_e32 vcc, s19, v1
	s_nop 0
	v_cndmask_b32_e64 v11, 0, -1, s[2:3]
	v_cmp_le_u32_e64 s[2:3], s18, v10
	s_nop 1
	v_cndmask_b32_e64 v10, 0, -1, s[2:3]
	v_cmp_eq_u32_e64 s[2:3], s19, v5
	s_nop 1
	v_cndmask_b32_e64 v5, v11, v10, s[2:3]
	v_lshl_add_u64 v[10:11], v[8:9], 0, 2
	v_cmp_ne_u32_e64 s[2:3], 0, v5
	s_nop 1
	v_cndmask_b32_e64 v5, v13, v11, s[2:3]
	v_cndmask_b32_e64 v11, 0, -1, vcc
	v_cmp_le_u32_e32 vcc, s18, v14
	s_nop 1
	v_cndmask_b32_e64 v13, 0, -1, vcc
	v_cmp_eq_u32_e32 vcc, s19, v1
	s_nop 1
	v_cndmask_b32_e32 v1, v11, v13, vcc
	v_cmp_ne_u32_e32 vcc, 0, v1
	v_cndmask_b32_e64 v1, v12, v10, s[2:3]
	s_nop 0
	v_cndmask_b32_e32 v9, v9, v5, vcc
	v_cndmask_b32_e32 v8, v8, v1, vcc
.LBB0_4:                                ;   in Loop: Header=BB0_2 Depth=1
	s_andn2_saveexec_b64 s[2:3], s[20:21]
	s_cbranch_execz .LBB0_6
; %bb.5:                                ;   in Loop: Header=BB0_2 Depth=1
	v_cvt_f32_u32_e32 v1, s18
	s_sub_i32 s20, 0, s18
	v_rcp_iflag_f32_e32 v1, v1
	s_nop 0
	v_mul_f32_e32 v1, 0x4f7ffffe, v1
	v_cvt_u32_f32_e32 v1, v1
	v_mul_lo_u32 v5, s20, v1
	v_mul_hi_u32 v5, v1, v5
	v_add_u32_e32 v1, v1, v5
	v_mul_hi_u32 v1, v6, v1
	v_mul_lo_u32 v5, v1, s18
	v_sub_u32_e32 v5, v6, v5
	v_add_u32_e32 v8, 1, v1
	v_subrev_u32_e32 v9, s18, v5
	v_cmp_le_u32_e32 vcc, s18, v5
	s_nop 1
	v_cndmask_b32_e32 v5, v5, v9, vcc
	v_cndmask_b32_e32 v1, v1, v8, vcc
	v_add_u32_e32 v8, 1, v1
	v_cmp_le_u32_e32 vcc, s18, v5
	v_mov_b32_e32 v9, v4
	s_nop 0
	v_cndmask_b32_e32 v8, v1, v8, vcc
.LBB0_6:                                ;   in Loop: Header=BB0_2 Depth=1
	s_or_b64 exec, exec, s[2:3]
	v_mad_u64_u32 v[10:11], s[2:3], v8, s18, 0
	s_load_dwordx2 s[2:3], s[12:13], 0x0
	v_mul_lo_u32 v1, v9, s18
	v_mul_lo_u32 v5, v8, s19
	v_add3_u32 v1, v11, v5, v1
	v_sub_co_u32_e32 v5, vcc, v6, v10
	s_add_u32 s14, s14, 1
	s_nop 0
	v_subb_co_u32_e32 v1, vcc, v7, v1, vcc
	s_addc_u32 s15, s15, 0
	s_waitcnt lgkmcnt(0)
	v_mul_lo_u32 v1, s2, v1
	v_mul_lo_u32 v6, s3, v5
	v_mad_u64_u32 v[2:3], s[2:3], s2, v5, v[2:3]
	s_add_u32 s12, s12, 8
	v_add3_u32 v3, v6, v3, v1
	s_addc_u32 s13, s13, 0
	v_mov_b64_e32 v[6:7], s[6:7]
	s_add_u32 s16, s16, 8
	v_cmp_ge_u64_e32 vcc, s[14:15], v[6:7]
	s_addc_u32 s17, s17, 0
	s_cbranch_vccnz .LBB0_9
; %bb.7:                                ;   in Loop: Header=BB0_2 Depth=1
	v_mov_b64_e32 v[6:7], v[8:9]
	s_branch .LBB0_2
.LBB0_8:
	v_mov_b64_e32 v[8:9], v[6:7]
.LBB0_9:
	s_lshl_b64 s[2:3], s[6:7], 3
	s_add_u32 s2, s10, s2
	s_addc_u32 s3, s11, s3
	s_load_dwordx2 s[6:7], s[2:3], 0x0
	s_load_dwordx2 s[10:11], s[0:1], 0x20
	s_mov_b32 s2, 0x1745d18
                                        ; implicit-def: $vgpr20
                                        ; implicit-def: $vgpr28
                                        ; implicit-def: $vgpr26
                                        ; implicit-def: $vgpr24
                                        ; implicit-def: $vgpr22
	s_waitcnt lgkmcnt(0)
	v_mul_lo_u32 v1, s6, v9
	v_mul_lo_u32 v4, s7, v8
	v_mad_u64_u32 v[2:3], s[0:1], s6, v8, v[2:3]
	v_add3_u32 v3, v4, v3, v1
	v_mul_hi_u32 v1, v0, s2
	v_mul_u32_u24_e32 v1, 0xb0, v1
	v_cmp_gt_u64_e64 s[0:1], s[10:11], v[8:9]
	v_cmp_le_u64_e32 vcc, s[10:11], v[8:9]
	v_sub_u32_e32 v16, v0, v1
	s_and_saveexec_b64 s[2:3], vcc
	s_xor_b64 s[2:3], exec, s[2:3]
; %bb.10:
	v_add_u32_e32 v20, 0xb0, v16
	v_add_u32_e32 v28, 0x160, v16
	;; [unrolled: 1-line block ×5, first 2 shown]
; %bb.11:
	s_or_saveexec_b64 s[2:3], s[2:3]
	v_lshl_add_u64 v[18:19], v[2:3], 3, s[8:9]
	s_xor_b64 exec, exec, s[2:3]
	s_cbranch_execz .LBB0_13
; %bb.12:
	v_mov_b32_e32 v17, 0
	v_lshl_add_u64 v[0:1], v[16:17], 3, v[18:19]
	s_movk_i32 s6, 0x1000
	v_add_co_u32_e32 v2, vcc, s6, v0
	s_movk_i32 s6, 0x2000
	s_nop 0
	v_addc_co_u32_e32 v3, vcc, 0, v1, vcc
	v_add_co_u32_e32 v12, vcc, s6, v0
	global_load_dwordx2 v[4:5], v[0:1], off
	global_load_dwordx2 v[6:7], v[0:1], off offset:1408
	global_load_dwordx2 v[8:9], v[0:1], off offset:2816
	;; [unrolled: 1-line block ×3, first 2 shown]
	v_addc_co_u32_e32 v13, vcc, 0, v1, vcc
	v_add_co_u32_e32 v0, vcc, 0x3000, v0
	global_load_dwordx2 v[14:15], v[2:3], off offset:1536
	global_load_dwordx2 v[30:31], v[2:3], off offset:2944
	;; [unrolled: 1-line block ×4, first 2 shown]
	v_addc_co_u32_e32 v1, vcc, 0, v1, vcc
	global_load_dwordx2 v[2:3], v[12:13], off offset:3072
	global_load_dwordx2 v[36:37], v[0:1], off offset:384
	;; [unrolled: 1-line block ×3, first 2 shown]
	v_lshl_add_u32 v0, v16, 3, 0
	v_add_u32_e32 v20, 0xb0, v16
	v_add_u32_e32 v28, 0x160, v16
	;; [unrolled: 1-line block ×9, first 2 shown]
	s_waitcnt vmcnt(9)
	ds_write2_b64 v0, v[4:5], v[6:7] offset1:176
	s_waitcnt vmcnt(7)
	ds_write2_b64 v1, v[8:9], v[10:11] offset0:32 offset1:208
	s_waitcnt vmcnt(5)
	ds_write2_b64 v12, v[14:15], v[30:31] offset0:64 offset1:240
	;; [unrolled: 2-line block ×3, first 2 shown]
	s_waitcnt vmcnt(1)
	ds_write2_b64 v17, v[2:3], v[36:37] offset1:176
	s_waitcnt vmcnt(0)
	ds_write_b64 v0, v[38:39] offset:14080
.LBB0_13:
	s_or_b64 exec, exec, s[2:3]
	v_lshlrev_b32_e32 v17, 3, v16
	v_add_u32_e32 v48, 0, v17
	v_add_u32_e32 v0, 0x1400, v48
	;; [unrolled: 1-line block ×3, first 2 shown]
	s_waitcnt lgkmcnt(0)
	s_barrier
	ds_read2_b64 v[0:3], v0 offset0:64 offset1:240
	ds_read2_b64 v[4:7], v4 offset0:8 offset1:184
	ds_read2_b64 v[34:37], v48 offset1:176
	s_movk_i32 s2, 0x58
	v_add_u32_e32 v29, v48, v17
	v_lshl_add_u32 v27, v20, 4, 0
	s_waitcnt lgkmcnt(1)
	v_pk_add_f32 v[10:11], v[2:3], v[6:7] neg_lo:[0,1] neg_hi:[0,1]
	v_lshl_add_u32 v23, v28, 4, 0
	v_pk_fma_f32 v[8:9], v[2:3], 2.0, v[10:11] op_sel_hi:[1,0,1] neg_lo:[0,0,1] neg_hi:[0,0,1]
	v_pk_add_f32 v[2:3], v[0:1], v[4:5] neg_lo:[0,1] neg_hi:[0,1]
	v_add_u32_e32 v4, 0xa00, v48
	v_pk_fma_f32 v[6:7], v[0:1], 2.0, v[2:3] op_sel_hi:[1,0,1] neg_lo:[0,0,1] neg_hi:[0,0,1]
	v_add_u32_e32 v0, 0x1c00, v48
	ds_read2_b64 v[12:15], v4 offset0:32 offset1:208
	v_add_u32_e32 v4, 0x2800, v48
	ds_read2_b64 v[38:41], v0 offset0:72 offset1:248
	ds_read2_b64 v[30:33], v4 offset0:40 offset1:216
	v_lshl_add_u32 v21, v26, 4, 0
	v_lshl_add_u32 v25, v24, 4, 0
	v_cmp_gt_u32_e32 vcc, s2, v16
	s_waitcnt lgkmcnt(1)
	v_pk_add_f32 v[38:39], v[34:35], v[38:39] neg_lo:[0,1] neg_hi:[0,1]
	s_waitcnt lgkmcnt(0)
	v_pk_add_f32 v[32:33], v[14:15], v[32:33] neg_lo:[0,1] neg_hi:[0,1]
	v_pk_add_f32 v[30:31], v[12:13], v[30:31] neg_lo:[0,1] neg_hi:[0,1]
	v_pk_add_f32 v[40:41], v[36:37], v[40:41] neg_lo:[0,1] neg_hi:[0,1]
	v_pk_fma_f32 v[34:35], v[34:35], 2.0, v[38:39] op_sel_hi:[1,0,1] neg_lo:[0,0,1] neg_hi:[0,0,1]
	v_pk_fma_f32 v[14:15], v[14:15], 2.0, v[32:33] op_sel_hi:[1,0,1] neg_lo:[0,0,1] neg_hi:[0,0,1]
	v_pk_fma_f32 v[12:13], v[12:13], 2.0, v[30:31] op_sel_hi:[1,0,1] neg_lo:[0,0,1] neg_hi:[0,0,1]
	v_pk_fma_f32 v[36:37], v[36:37], 2.0, v[40:41] op_sel_hi:[1,0,1] neg_lo:[0,0,1] neg_hi:[0,0,1]
	s_barrier
	ds_write2_b64 v29, v[34:35], v[38:39] offset1:1
	ds_write2_b64 v27, v[36:37], v[40:41] offset1:1
	;; [unrolled: 1-line block ×5, first 2 shown]
	s_and_saveexec_b64 s[2:3], vcc
	s_cbranch_execz .LBB0_15
; %bb.14:
	v_lshl_add_u32 v1, v22, 4, 0
	ds_write2_b64 v1, v[8:9], v[10:11] offset1:1
.LBB0_15:
	s_or_b64 exec, exec, s[2:3]
	v_lshlrev_b32_e32 v42, 3, v20
	v_lshlrev_b32_e32 v45, 3, v28
	;; [unrolled: 1-line block ×4, first 2 shown]
	v_sub_u32_e32 v30, v27, v42
	v_sub_u32_e32 v5, v23, v45
	;; [unrolled: 1-line block ×4, first 2 shown]
	s_waitcnt lgkmcnt(0)
	s_barrier
	ds_read_b64 v[12:13], v48
	ds_read2_b64 v[0:3], v0 offset0:72 offset1:248
	ds_read_b64 v[14:15], v5
	ds_read2_b64 v[4:7], v4 offset0:40 offset1:216
	ds_read_b64 v[38:39], v31
	ds_read_b64 v[32:33], v32
	;; [unrolled: 1-line block ×3, first 2 shown]
	ds_read_b64 v[30:31], v48 offset:13376
	v_lshlrev_b32_e32 v34, 1, v20
	v_lshlrev_b32_e32 v37, 1, v28
	;; [unrolled: 1-line block ×4, first 2 shown]
	v_lshl_add_u32 v49, v22, 3, 0
	s_and_saveexec_b64 s[2:3], vcc
	s_cbranch_execz .LBB0_17
; %bb.16:
	ds_read_b64 v[8:9], v49
	ds_read_b64 v[10:11], v48 offset:14784
.LBB0_17:
	s_or_b64 exec, exec, s[2:3]
	v_and_b32_e32 v43, 1, v16
	v_lshlrev_b32_e32 v46, 3, v43
	global_load_dwordx2 v[46:47], v46, s[4:5]
	v_lshlrev_b32_e32 v51, 1, v16
	s_movk_i32 s2, 0x1fc
	s_movk_i32 s3, 0x3fc
	s_movk_i32 s6, 0x7fc
	s_waitcnt lgkmcnt(0)
	v_mov_b32_e32 v50, v11
	v_and_or_b32 v51, v51, s2, v43
	v_and_or_b32 v34, v34, s3, v43
	v_and_or_b32 v37, v37, s6, v43
	v_and_or_b32 v36, v36, s6, v43
	v_and_or_b32 v35, v35, s6, v43
	v_lshl_add_u32 v60, v51, 3, 0
	v_lshl_add_u32 v61, v34, 3, 0
	;; [unrolled: 1-line block ×5, first 2 shown]
	v_sub_u32_e32 v42, 0, v42
	v_sub_u32_e32 v45, 0, v45
	s_barrier
	s_waitcnt vmcnt(0)
	v_pk_mul_f32 v[34:35], v[46:47], v[30:31] op_sel:[0,1]
	v_pk_mul_f32 v[36:37], v[50:51], v[46:47] op_sel_hi:[0,1]
	v_pk_mul_f32 v[50:51], v[46:47], v[0:1] op_sel:[0,1]
	v_pk_mul_f32 v[52:53], v[46:47], v[2:3] op_sel:[0,1]
	;; [unrolled: 1-line block ×4, first 2 shown]
	v_pk_fma_f32 v[58:59], v[46:47], v[30:31], v[34:35] op_sel:[0,0,1] op_sel_hi:[1,1,0] neg_lo:[0,0,1] neg_hi:[0,0,1]
	v_pk_fma_f32 v[30:31], v[46:47], v[30:31], v[34:35] op_sel:[0,0,1] op_sel_hi:[1,0,0]
	v_pk_fma_f32 v[34:35], v[10:11], v[46:47], v[36:37] op_sel:[0,0,1] op_sel_hi:[1,1,0] neg_lo:[0,0,1] neg_hi:[0,0,1]
	v_pk_fma_f32 v[10:11], v[10:11], v[46:47], v[36:37] op_sel:[0,0,1] op_sel_hi:[0,1,0]
	;; [unrolled: 2-line block ×6, first 2 shown]
	v_mov_b32_e32 v59, v31
	v_mov_b32_e32 v35, v11
	;; [unrolled: 1-line block ×6, first 2 shown]
	v_pk_add_f32 v[30:31], v[32:33], v[58:59] neg_lo:[0,1] neg_hi:[0,1]
	v_pk_add_f32 v[34:35], v[8:9], v[34:35] neg_lo:[0,1] neg_hi:[0,1]
	;; [unrolled: 1-line block ×6, first 2 shown]
	v_pk_fma_f32 v[32:33], v[32:33], 2.0, v[30:31] op_sel_hi:[1,0,1] neg_lo:[0,0,1] neg_hi:[0,0,1]
	v_pk_fma_f32 v[36:37], v[8:9], 2.0, v[34:35] op_sel_hi:[1,0,1] neg_lo:[0,0,1] neg_hi:[0,0,1]
	;; [unrolled: 1-line block ×6, first 2 shown]
	ds_write2_b64 v60, v[8:9], v[0:1] offset1:2
	ds_write2_b64 v61, v[10:11], v[2:3] offset1:2
	;; [unrolled: 1-line block ×5, first 2 shown]
	s_and_saveexec_b64 s[2:3], vcc
	s_cbranch_execz .LBB0_19
; %bb.18:
	v_lshlrev_b32_e32 v0, 1, v22
	v_and_or_b32 v0, v0, s6, v43
	v_lshl_add_u32 v0, v0, 3, 0
	ds_write2_b64 v0, v[36:37], v[34:35] offset1:2
.LBB0_19:
	s_or_b64 exec, exec, s[2:3]
	v_add_u32_e32 v0, 0xe00, v48
	s_waitcnt lgkmcnt(0)
	s_barrier
	ds_read2_b64 v[4:7], v0 offset0:36 offset1:212
	v_add_u32_e32 v0, 0x1c00, v48
	ds_read2_b64 v[8:11], v0 offset0:72 offset1:248
	v_add_u32_e32 v0, 0x2c00, v48
	;; [unrolled: 2-line block ×3, first 2 shown]
	ds_read_b64 v[42:43], v48
	ds_read_b64 v[38:39], v50
	s_movk_i32 s2, 0x84
	v_cmp_gt_u32_e64 s[2:3], s2, v16
	v_add_u32_e32 v23, v23, v45
	s_and_saveexec_b64 s[6:7], s[2:3]
	s_cbranch_execz .LBB0_21
; %bb.20:
	ds_read_b64 v[30:31], v48 offset:6688
	ds_read_b64 v[36:37], v48 offset:10560
	ds_read_b64 v[32:33], v23
	ds_read_b64 v[34:35], v48 offset:14432
.LBB0_21:
	s_or_b64 exec, exec, s[6:7]
	v_and_b32_e32 v45, 3, v16
	v_mul_u32_u24_e32 v0, 3, v45
	v_lshlrev_b32_e32 v27, 3, v0
	global_load_dwordx4 v[0:3], v27, s[4:5] offset:16
	global_load_dwordx2 v[40:41], v27, s[4:5] offset:32
	v_lshlrev_b32_e32 v46, 2, v20
	s_movk_i32 s7, 0x7f0
	v_and_or_b32 v46, v46, s7, v45
	v_lshl_add_u32 v51, v46, 3, 0
	v_sub_u32_e32 v27, 0, v29
	v_sub_u32_e32 v29, 0, v44
	v_lshlrev_b32_e32 v44, 2, v16
	s_movk_i32 s6, 0x3f0
	v_and_or_b32 v44, v44, s6, v45
	v_lshl_add_u32 v44, v44, 3, 0
	s_waitcnt lgkmcnt(0)
	s_barrier
	s_waitcnt vmcnt(1)
	v_pk_mul_f32 v[46:47], v[0:1], v[4:5] op_sel:[0,1]
	v_pk_mul_f32 v[52:53], v[2:3], v[8:9] op_sel:[0,1]
	s_waitcnt vmcnt(0)
	v_pk_mul_f32 v[54:55], v[40:41], v[12:13] op_sel:[0,1]
	v_pk_mul_f32 v[56:57], v[0:1], v[6:7] op_sel:[0,1]
	;; [unrolled: 1-line block ×4, first 2 shown]
	v_pk_fma_f32 v[62:63], v[0:1], v[4:5], v[46:47] op_sel:[0,0,1] op_sel_hi:[1,1,0] neg_lo:[0,0,1] neg_hi:[0,0,1]
	v_pk_fma_f32 v[4:5], v[0:1], v[4:5], v[46:47] op_sel:[0,0,1] op_sel_hi:[1,0,0]
	v_pk_fma_f32 v[46:47], v[2:3], v[8:9], v[52:53] op_sel:[0,0,1] op_sel_hi:[1,1,0] neg_lo:[0,0,1] neg_hi:[0,0,1]
	v_pk_fma_f32 v[8:9], v[2:3], v[8:9], v[52:53] op_sel:[0,0,1] op_sel_hi:[1,0,0]
	v_pk_fma_f32 v[52:53], v[40:41], v[12:13], v[54:55] op_sel:[0,0,1] op_sel_hi:[1,1,0] neg_lo:[0,0,1] neg_hi:[0,0,1]
	v_pk_fma_f32 v[12:13], v[40:41], v[12:13], v[54:55] op_sel:[0,0,1] op_sel_hi:[1,0,0]
	v_pk_fma_f32 v[54:55], v[0:1], v[6:7], v[56:57] op_sel:[0,0,1] op_sel_hi:[1,1,0] neg_lo:[0,0,1] neg_hi:[0,0,1]
	v_pk_fma_f32 v[6:7], v[0:1], v[6:7], v[56:57] op_sel:[0,0,1] op_sel_hi:[1,0,0]
	v_pk_fma_f32 v[56:57], v[2:3], v[10:11], v[58:59] op_sel:[0,0,1] op_sel_hi:[1,1,0] neg_lo:[0,0,1] neg_hi:[0,0,1]
	v_pk_fma_f32 v[10:11], v[2:3], v[10:11], v[58:59] op_sel:[0,0,1] op_sel_hi:[1,0,0]
	v_pk_fma_f32 v[58:59], v[40:41], v[14:15], v[60:61] op_sel:[0,0,1] op_sel_hi:[1,1,0] neg_lo:[0,0,1] neg_hi:[0,0,1]
	v_pk_fma_f32 v[14:15], v[40:41], v[14:15], v[60:61] op_sel:[0,0,1] op_sel_hi:[1,0,0]
	v_mov_b32_e32 v63, v5
	v_mov_b32_e32 v47, v9
	;; [unrolled: 1-line block ×6, first 2 shown]
	v_pk_add_f32 v[4:5], v[42:43], v[46:47] neg_lo:[0,1] neg_hi:[0,1]
	v_pk_add_f32 v[6:7], v[62:63], v[52:53] neg_lo:[0,1] neg_hi:[0,1]
	;; [unrolled: 1-line block ×4, first 2 shown]
	v_pk_fma_f32 v[12:13], v[42:43], 2.0, v[4:5] op_sel_hi:[1,0,1] neg_lo:[0,0,1] neg_hi:[0,0,1]
	v_pk_fma_f32 v[14:15], v[62:63], 2.0, v[6:7] op_sel_hi:[1,0,1] neg_lo:[0,0,1] neg_hi:[0,0,1]
	v_pk_add_f32 v[42:43], v[4:5], v[6:7] op_sel:[0,1] op_sel_hi:[1,0] neg_lo:[0,1] neg_hi:[0,1]
	v_pk_add_f32 v[6:7], v[4:5], v[6:7] op_sel:[0,1] op_sel_hi:[1,0]
	v_pk_fma_f32 v[38:39], v[38:39], 2.0, v[8:9] op_sel_hi:[1,0,1] neg_lo:[0,0,1] neg_hi:[0,0,1]
	v_pk_fma_f32 v[46:47], v[54:55], 2.0, v[10:11] op_sel_hi:[1,0,1] neg_lo:[0,0,1] neg_hi:[0,0,1]
	v_pk_add_f32 v[52:53], v[8:9], v[10:11] op_sel:[0,1] op_sel_hi:[1,0] neg_lo:[0,1] neg_hi:[0,1]
	v_pk_add_f32 v[10:11], v[8:9], v[10:11] op_sel:[0,1] op_sel_hi:[1,0]
	v_pk_add_f32 v[14:15], v[12:13], v[14:15] neg_lo:[0,1] neg_hi:[0,1]
	v_mov_b32_e32 v43, v7
	v_pk_add_f32 v[6:7], v[38:39], v[46:47] neg_lo:[0,1] neg_hi:[0,1]
	v_mov_b32_e32 v53, v11
	v_pk_fma_f32 v[10:11], v[12:13], 2.0, v[14:15] op_sel_hi:[1,0,1] neg_lo:[0,0,1] neg_hi:[0,0,1]
	v_pk_fma_f32 v[4:5], v[4:5], 2.0, v[42:43] op_sel_hi:[1,0,1] neg_lo:[0,0,1] neg_hi:[0,0,1]
	ds_write2_b64 v44, v[14:15], v[42:43] offset0:8 offset1:12
	v_pk_fma_f32 v[12:13], v[38:39], 2.0, v[6:7] op_sel_hi:[1,0,1] neg_lo:[0,0,1] neg_hi:[0,0,1]
	v_pk_fma_f32 v[8:9], v[8:9], 2.0, v[52:53] op_sel_hi:[1,0,1] neg_lo:[0,0,1] neg_hi:[0,0,1]
	ds_write2_b64 v44, v[10:11], v[4:5] offset1:4
	ds_write2_b64 v51, v[12:13], v[8:9] offset1:4
	ds_write2_b64 v51, v[6:7], v[52:53] offset0:8 offset1:12
	s_and_saveexec_b64 s[6:7], s[2:3]
	s_cbranch_execz .LBB0_23
; %bb.22:
	v_mov_b32_e32 v4, v37
	v_mov_b32_e32 v6, v31
	v_lshlrev_b32_e32 v10, 2, v28
	s_movk_i32 s2, 0xff0
	v_pk_mul_f32 v[4:5], v[4:5], v[2:3] op_sel_hi:[0,1]
	v_pk_mul_f32 v[6:7], v[6:7], v[0:1] op_sel_hi:[0,1]
	v_mov_b32_e32 v8, v35
	v_and_or_b32 v10, v10, s2, v45
	v_pk_mul_f32 v[8:9], v[8:9], v[40:41] op_sel_hi:[0,1]
	v_lshl_add_u32 v12, v10, 3, 0
	v_pk_fma_f32 v[10:11], v[36:37], v[2:3], v[4:5] op_sel:[0,0,1] op_sel_hi:[1,1,0] neg_lo:[0,0,1] neg_hi:[0,0,1]
	v_pk_fma_f32 v[2:3], v[36:37], v[2:3], v[4:5] op_sel:[0,0,1] op_sel_hi:[0,1,0]
	v_pk_fma_f32 v[4:5], v[30:31], v[0:1], v[6:7] op_sel:[0,0,1] op_sel_hi:[1,1,0] neg_lo:[0,0,1] neg_hi:[0,0,1]
	v_pk_fma_f32 v[0:1], v[30:31], v[0:1], v[6:7] op_sel:[0,0,1] op_sel_hi:[0,1,0]
	v_mov_b32_e32 v5, v1
	v_pk_fma_f32 v[0:1], v[34:35], v[40:41], v[8:9] op_sel:[0,0,1] op_sel_hi:[1,1,0] neg_lo:[0,0,1] neg_hi:[0,0,1]
	v_pk_fma_f32 v[6:7], v[34:35], v[40:41], v[8:9] op_sel:[0,0,1] op_sel_hi:[0,1,0]
	v_mov_b32_e32 v11, v3
	v_mov_b32_e32 v1, v7
	v_pk_add_f32 v[2:3], v[32:33], v[10:11] neg_lo:[0,1] neg_hi:[0,1]
	v_pk_add_f32 v[0:1], v[4:5], v[0:1] neg_lo:[0,1] neg_hi:[0,1]
	v_pk_fma_f32 v[6:7], v[32:33], 2.0, v[2:3] op_sel_hi:[1,0,1] neg_lo:[0,0,1] neg_hi:[0,0,1]
	v_pk_fma_f32 v[4:5], v[4:5], 2.0, v[0:1] op_sel_hi:[1,0,1] neg_lo:[0,0,1] neg_hi:[0,0,1]
	v_pk_add_f32 v[8:9], v[2:3], v[0:1] op_sel:[0,1] op_sel_hi:[1,0] neg_lo:[0,1] neg_hi:[0,1]
	v_pk_add_f32 v[0:1], v[2:3], v[0:1] op_sel:[0,1] op_sel_hi:[1,0]
	v_pk_add_f32 v[4:5], v[6:7], v[4:5] neg_lo:[0,1] neg_hi:[0,1]
	v_mov_b32_e32 v9, v1
	v_pk_fma_f32 v[6:7], v[6:7], 2.0, v[4:5] op_sel_hi:[1,0,1] neg_lo:[0,0,1] neg_hi:[0,0,1]
	v_pk_fma_f32 v[0:1], v[2:3], 2.0, v[8:9] op_sel_hi:[1,0,1] neg_lo:[0,0,1] neg_hi:[0,0,1]
	ds_write2_b64 v12, v[6:7], v[0:1] offset1:4
	ds_write2_b64 v12, v[4:5], v[8:9] offset0:8 offset1:12
.LBB0_23:
	s_or_b64 exec, exec, s[6:7]
	v_and_b32_e32 v53, 15, v16
	v_mul_u32_u24_e32 v0, 10, v53
	v_lshlrev_b32_e32 v0, 3, v0
	s_waitcnt lgkmcnt(0)
	s_barrier
	global_load_dwordx4 v[2:5], v0, s[4:5] offset:112
	global_load_dwordx4 v[6:9], v0, s[4:5] offset:128
	;; [unrolled: 1-line block ×5, first 2 shown]
	v_add_u32_e32 v52, v21, v27
	ds_read_b64 v[0:1], v48
	v_add_u32_e32 v51, v25, v29
	ds_read_b64 v[14:15], v23
	ds_read_b64 v[46:47], v49
	v_add_u32_e32 v25, 0x2000, v48
	ds_read_b64 v[54:55], v52
	ds_read_b64 v[56:57], v50
	ds_read_b64 v[58:59], v48 offset:14080
	ds_read_b64 v[60:61], v51
	v_add_u32_e32 v21, 0x2c00, v48
	ds_read2_b64 v[38:41], v25 offset0:32 offset1:208
	ds_read2_b64 v[42:45], v21 offset1:176
	s_mov_b32 s2, 0xbf0a6770
	s_mov_b32 s3, 0x3f575c64
	;; [unrolled: 1-line block ×20, first 2 shown]
	v_lshrrev_b32_e32 v27, 4, v16
	v_mul_u32_u24_e32 v27, 0xb0, v27
	v_or_b32_e32 v27, v27, v53
	v_lshl_add_u32 v27, v27, 3, 0
	s_waitcnt lgkmcnt(0)
	s_barrier
	s_mov_b32 s20, 0x3e903f40
	s_mov_b32 s40, s13
	;; [unrolled: 1-line block ×16, first 2 shown]
	s_waitcnt vmcnt(4)
	v_mul_f32_e32 v29, v3, v57
	v_mul_f32_e32 v63, v3, v56
	v_mov_b32_e32 v64, v5
	v_mov_b32_e32 v65, v4
	s_waitcnt vmcnt(3)
	v_pk_mul_f32 v[66:67], v[6:7], v[54:55] op_sel:[0,1]
	v_pk_mul_f32 v[68:69], v[8:9], v[60:61] op_sel:[0,1]
	s_waitcnt vmcnt(2)
	v_pk_mul_f32 v[70:71], v[10:11], v[46:47] op_sel:[0,1]
	v_mov_b32_e32 v72, v13
	s_waitcnt vmcnt(1)
	v_pk_mul_f32 v[74:75], v[40:41], v[30:31] op_sel:[0,1]
	v_fma_f32 v62, v2, v56, -v29
	v_fmac_f32_e32 v63, v2, v57
	v_pk_mul_f32 v[2:3], v[64:65], v[14:15] op_sel:[0,1]
	v_pk_fma_f32 v[82:83], v[6:7], v[54:55], v[66:67] op_sel:[0,0,1] op_sel_hi:[1,1,0] neg_lo:[0,0,1] neg_hi:[0,0,1]
	v_pk_fma_f32 v[6:7], v[6:7], v[54:55], v[66:67] op_sel:[0,0,1] op_sel_hi:[1,0,0]
	v_pk_fma_f32 v[54:55], v[8:9], v[60:61], v[68:69] op_sel:[0,0,1] op_sel_hi:[1,1,0] neg_lo:[0,0,1] neg_hi:[0,0,1]
	v_pk_fma_f32 v[8:9], v[8:9], v[60:61], v[68:69] op_sel:[0,0,1] op_sel_hi:[1,0,0]
	;; [unrolled: 2-line block ×3, first 2 shown]
	v_pk_mul_f32 v[46:47], v[38:39], v[72:73] op_sel_hi:[1,0]
	v_pk_fma_f32 v[60:61], v[40:41], v[30:31], v[74:75] op_sel:[0,0,1] op_sel_hi:[1,1,0] neg_lo:[0,0,1] neg_hi:[0,0,1]
	v_pk_fma_f32 v[30:31], v[40:41], v[30:31], v[74:75] op_sel:[0,0,1] op_sel_hi:[1,0,0]
	v_pk_fma_f32 v[66:67], v[4:5], v[14:15], v[2:3] neg_lo:[0,0,1] neg_hi:[0,0,1]
	v_pk_fma_f32 v[2:3], v[4:5], v[14:15], v[2:3] op_sel_hi:[1,0,1]
	v_mov_b32_e32 v83, v7
	v_pk_fma_f32 v[4:5], v[38:39], v[12:13], v[46:47] op_sel:[0,0,1] op_sel_hi:[1,1,0] neg_lo:[0,0,1] neg_hi:[0,0,1]
	v_pk_fma_f32 v[6:7], v[38:39], v[12:13], v[46:47] op_sel:[0,0,1] op_sel_hi:[1,0,0]
	v_mov_b32_e32 v61, v31
	v_pk_add_f32 v[30:31], v[62:63], v[0:1]
	v_mov_b32_e32 v67, v3
	v_mov_b32_e32 v5, v7
	v_pk_add_f32 v[6:7], v[30:31], v[66:67]
	v_mov_b32_e32 v76, v33
	s_waitcnt vmcnt(0)
	v_pk_mul_f32 v[78:79], v[44:45], v[34:35] op_sel:[0,1]
	v_mov_b32_e32 v80, v37
	v_mov_b32_e32 v55, v9
	v_pk_add_f32 v[6:7], v[6:7], v[82:83]
	v_pk_mul_f32 v[40:41], v[42:43], v[76:77] op_sel_hi:[1,0]
	v_pk_fma_f32 v[64:65], v[44:45], v[34:35], v[78:79] op_sel:[0,0,1] op_sel_hi:[1,1,0] neg_lo:[0,0,1] neg_hi:[0,0,1]
	v_pk_fma_f32 v[34:35], v[44:45], v[34:35], v[78:79] op_sel:[0,0,1] op_sel_hi:[1,0,0]
	v_pk_mul_f32 v[44:45], v[58:59], v[80:81] op_sel_hi:[1,0]
	v_mov_b32_e32 v57, v11
	v_pk_add_f32 v[6:7], v[6:7], v[54:55]
	v_pk_fma_f32 v[8:9], v[42:43], v[32:33], v[40:41] op_sel:[0,0,1] op_sel_hi:[1,1,0] neg_lo:[0,0,1] neg_hi:[0,0,1]
	v_pk_fma_f32 v[10:11], v[42:43], v[32:33], v[40:41] op_sel:[0,0,1] op_sel_hi:[1,0,0]
	v_mov_b32_e32 v65, v35
	v_pk_fma_f32 v[12:13], v[58:59], v[36:37], v[44:45] op_sel:[0,0,1] op_sel_hi:[1,0,0] neg_lo:[0,0,1] neg_hi:[0,0,1]
	v_pk_fma_f32 v[14:15], v[58:59], v[36:37], v[44:45] op_sel:[0,0,1] op_sel_hi:[1,0,0]
	v_pk_add_f32 v[6:7], v[6:7], v[56:57]
	v_mov_b32_e32 v9, v11
	v_add_f32_e32 v42, v62, v12
	v_add_f32_e32 v3, v63, v15
	v_sub_f32_e32 v43, v62, v12
	v_sub_f32_e32 v2, v63, v15
	v_pk_add_f32 v[46:47], v[66:67], v[64:65]
	v_pk_add_f32 v[10:11], v[66:67], v[64:65] neg_lo:[0,1] neg_hi:[0,1]
	v_pk_add_f32 v[62:63], v[56:57], v[4:5]
	v_pk_add_f32 v[66:67], v[56:57], v[4:5] neg_lo:[0,1] neg_hi:[0,1]
	v_pk_add_f32 v[4:5], v[6:7], v[4:5]
	v_mov_b32_e32 v13, v15
	v_pk_add_f32 v[4:5], v[4:5], v[60:61]
	v_pk_mul_f32 v[6:7], v[42:43], s[14:15]
	v_pk_add_f32 v[4:5], v[4:5], v[8:9]
	v_pk_add_f32 v[44:45], v[54:55], v[60:61]
	;; [unrolled: 1-line block ×3, first 2 shown]
	v_pk_add_f32 v[36:37], v[54:55], v[60:61] neg_lo:[0,1] neg_hi:[0,1]
	v_pk_add_f32 v[58:59], v[82:83], v[8:9]
	v_pk_add_f32 v[30:31], v[82:83], v[8:9] neg_lo:[0,1] neg_hi:[0,1]
	v_pk_add_f32 v[54:55], v[4:5], v[12:13]
	v_pk_fma_f32 v[8:9], v[2:3], s[2:3], v[6:7] neg_lo:[1,0,0] neg_hi:[1,0,0]
	v_pk_fma_f32 v[4:5], v[2:3], s[2:3], v[6:7]
	s_nop 0
	v_mov_b32_e32 v9, v5
	v_pk_add_f32 v[14:15], v[8:9], v[0:1]
	v_mov_b32_e32 v9, v47
	v_mov_b32_e32 v47, v10
	v_mov_b32_e32 v8, v11
	v_pk_mul_f32 v[12:13], v[46:47], s[16:17]
	v_pk_mul_f32 v[68:69], v[46:47], s[22:23]
	v_pk_fma_f32 v[32:33], v[8:9], s[6:7], v[12:13] neg_lo:[1,0,0] neg_hi:[1,0,0]
	v_pk_fma_f32 v[10:11], v[8:9], s[6:7], v[12:13]
	v_pk_fma_f32 v[70:71], v[8:9], s[10:11], v[68:69] neg_lo:[1,0,0] neg_hi:[1,0,0]
	v_mov_b32_e32 v33, v11
	v_pk_add_f32 v[34:35], v[32:33], v[14:15]
	v_mov_b32_e32 v15, v59
	v_mov_b32_e32 v59, v30
	v_mov_b32_e32 v14, v31
	v_pk_mul_f32 v[32:33], v[58:59], s[18:19]
	v_pk_fma_f32 v[72:73], v[8:9], s[10:11], v[68:69]
	v_pk_fma_f32 v[38:39], v[14:15], s[8:9], v[32:33] neg_lo:[1,0,0] neg_hi:[1,0,0]
	v_pk_fma_f32 v[30:31], v[14:15], s[8:9], v[32:33]
	v_mov_b32_e32 v71, v73
	v_mov_b32_e32 v39, v31
	v_pk_add_f32 v[40:41], v[38:39], v[34:35]
	v_mov_b32_e32 v35, v45
	v_mov_b32_e32 v45, v36
	;; [unrolled: 1-line block ×3, first 2 shown]
	v_pk_mul_f32 v[38:39], v[44:45], s[22:23]
	v_pk_mul_f32 v[90:91], v[46:47], s[40:41]
	v_pk_fma_f32 v[56:57], v[34:35], s[10:11], v[38:39] neg_lo:[1,0,0] neg_hi:[1,0,0]
	v_pk_fma_f32 v[36:37], v[34:35], s[10:11], v[38:39]
	v_pk_fma_f32 v[92:93], v[8:9], s[20:21], v[90:91] neg_lo:[1,0,0] neg_hi:[1,0,0]
	v_mov_b32_e32 v57, v37
	v_pk_add_f32 v[56:57], v[56:57], v[40:41]
	v_mov_b32_e32 v41, v63
	v_mov_b32_e32 v63, v66
	;; [unrolled: 1-line block ×3, first 2 shown]
	v_pk_mul_f32 v[60:61], v[62:63], s[26:27]
	v_pk_fma_f32 v[94:95], v[8:9], s[20:21], v[90:91]
	v_pk_fma_f32 v[64:65], v[40:41], s[12:13], v[60:61] neg_lo:[1,0,0] neg_hi:[1,0,0]
	v_pk_fma_f32 v[66:67], v[40:41], s[12:13], v[60:61]
	v_mov_b32_e32 v93, v95
	v_mov_b32_e32 v65, v67
	v_pk_add_f32 v[56:57], v[64:65], v[56:57]
	ds_write2_b64 v27, v[54:55], v[56:57] offset1:16
	v_pk_mul_f32 v[54:55], v[42:43], s[16:17]
	v_pk_mul_f32 v[108:109], v[46:47], s[38:39]
	v_pk_fma_f32 v[56:57], v[2:3], s[6:7], v[54:55] neg_lo:[1,0,0] neg_hi:[1,0,0]
	v_pk_fma_f32 v[64:65], v[2:3], s[6:7], v[54:55]
	v_pk_fma_f32 v[110:111], v[8:9], s[24:25], v[108:109] neg_lo:[1,0,0] neg_hi:[1,0,0]
	v_mov_b32_e32 v57, v65
	v_pk_add_f32 v[56:57], v[56:57], v[0:1]
	v_pk_fma_f32 v[112:113], v[8:9], s[24:25], v[108:109]
	v_pk_add_f32 v[56:57], v[70:71], v[56:57]
	v_pk_mul_f32 v[70:71], v[58:59], s[40:41]
	v_mov_b32_e32 v111, v113
	v_pk_fma_f32 v[74:75], v[14:15], s[20:21], v[70:71] neg_lo:[1,0,0] neg_hi:[1,0,0]
	v_pk_fma_f32 v[76:77], v[14:15], s[20:21], v[70:71]
	v_pk_mul_f32 v[46:47], v[46:47], s[34:35]
	v_mov_b32_e32 v75, v77
	v_pk_add_f32 v[56:57], v[74:75], v[56:57]
	v_pk_mul_f32 v[74:75], v[44:45], s[38:39]
	v_pk_fma_f32 v[128:129], v[8:9], s[28:29], v[46:47] neg_lo:[1,0,0] neg_hi:[1,0,0]
	v_pk_fma_f32 v[78:79], v[34:35], s[24:25], v[74:75] neg_lo:[1,0,0] neg_hi:[1,0,0]
	v_pk_fma_f32 v[80:81], v[34:35], s[24:25], v[74:75]
	v_pk_fma_f32 v[130:131], v[8:9], s[28:29], v[46:47]
	v_mov_b32_e32 v79, v81
	v_pk_add_f32 v[56:57], v[78:79], v[56:57]
	v_pk_mul_f32 v[78:79], v[62:63], s[34:35]
	v_mov_b32_e32 v129, v131
	v_pk_fma_f32 v[82:83], v[40:41], s[28:29], v[78:79] neg_lo:[1,0,0] neg_hi:[1,0,0]
	v_pk_fma_f32 v[84:85], v[40:41], s[28:29], v[78:79]
	s_nop 0
	v_mov_b32_e32 v83, v85
	v_pk_add_f32 v[56:57], v[82:83], v[56:57]
	v_pk_mul_f32 v[82:83], v[42:43], s[18:19]
	s_nop 0
	v_pk_fma_f32 v[86:87], v[2:3], s[8:9], v[82:83] neg_lo:[1,0,0] neg_hi:[1,0,0]
	v_pk_fma_f32 v[88:89], v[2:3], s[8:9], v[82:83]
	s_nop 0
	v_mov_b32_e32 v87, v89
	v_pk_add_f32 v[86:87], v[86:87], v[0:1]
	s_nop 0
	v_pk_add_f32 v[86:87], v[92:93], v[86:87]
	v_pk_mul_f32 v[92:93], v[58:59], s[36:37]
	s_nop 0
	v_pk_fma_f32 v[96:97], v[14:15], s[30:31], v[92:93] neg_lo:[1,0,0] neg_hi:[1,0,0]
	v_pk_fma_f32 v[98:99], v[14:15], s[30:31], v[92:93]
	s_nop 0
	v_mov_b32_e32 v97, v99
	v_pk_add_f32 v[86:87], v[96:97], v[86:87]
	v_pk_mul_f32 v[96:97], v[44:45], s[14:15]
	s_nop 0
	v_pk_fma_f32 v[100:101], v[34:35], s[2:3], v[96:97] neg_lo:[1,0,0] neg_hi:[1,0,0]
	v_pk_fma_f32 v[102:103], v[34:35], s[2:3], v[96:97]
	s_nop 0
	v_mov_b32_e32 v101, v103
	;; [unrolled: 7-line block ×3, first 2 shown]
	v_pk_add_f32 v[86:87], v[104:105], v[86:87]
	ds_write2_b64 v27, v[56:57], v[86:87] offset0:32 offset1:48
	v_pk_mul_f32 v[56:57], v[42:43], s[22:23]
	v_pk_mul_f32 v[42:43], v[42:43], s[26:27]
	v_pk_fma_f32 v[86:87], v[2:3], s[10:11], v[56:57] neg_lo:[1,0,0] neg_hi:[1,0,0]
	v_pk_fma_f32 v[104:105], v[2:3], s[10:11], v[56:57]
	v_pk_fma_f32 v[126:127], v[2:3], s[12:13], v[42:43]
	v_mov_b32_e32 v87, v105
	v_pk_add_f32 v[86:87], v[86:87], v[0:1]
	s_nop 0
	v_pk_add_f32 v[86:87], v[110:111], v[86:87]
	v_pk_mul_f32 v[110:111], v[58:59], s[14:15]
	v_pk_mul_f32 v[58:59], v[58:59], s[22:23]
	v_pk_fma_f32 v[114:115], v[14:15], s[2:3], v[110:111] neg_lo:[1,0,0] neg_hi:[1,0,0]
	v_pk_fma_f32 v[116:117], v[14:15], s[2:3], v[110:111]
	v_pk_fma_f32 v[132:133], v[14:15], s[10:11], v[58:59]
	v_mov_b32_e32 v115, v117
	v_pk_add_f32 v[86:87], v[114:115], v[86:87]
	v_pk_mul_f32 v[114:115], v[44:45], s[26:27]
	v_pk_mul_f32 v[44:45], v[44:45], s[36:37]
	v_pk_fma_f32 v[118:119], v[34:35], s[12:13], v[114:115] neg_lo:[1,0,0] neg_hi:[1,0,0]
	v_pk_fma_f32 v[120:121], v[34:35], s[12:13], v[114:115]
	v_pk_fma_f32 v[134:135], v[34:35], s[30:31], v[44:45]
	v_mov_b32_e32 v119, v121
	;; [unrolled: 7-line block ×3, first 2 shown]
	v_pk_add_f32 v[86:87], v[122:123], v[86:87]
	v_pk_fma_f32 v[122:123], v[2:3], s[12:13], v[42:43] neg_lo:[1,0,0] neg_hi:[1,0,0]
	v_pk_fma_f32 v[42:43], v[2:3], s[12:13], v[42:43] neg_lo:[0,0,1] neg_hi:[0,0,1]
	v_mov_b32_e32 v123, v127
	v_pk_add_f32 v[122:123], v[122:123], v[0:1]
	v_mov_b32_e32 v127, v43
	v_pk_add_f32 v[122:123], v[128:129], v[122:123]
	v_pk_fma_f32 v[128:129], v[14:15], s[10:11], v[58:59] neg_lo:[1,0,0] neg_hi:[1,0,0]
	v_pk_fma_f32 v[42:43], v[8:9], s[28:29], v[46:47] neg_lo:[0,0,1] neg_hi:[0,0,1]
	v_mov_b32_e32 v129, v133
	v_pk_add_f32 v[122:123], v[128:129], v[122:123]
	v_pk_fma_f32 v[128:129], v[34:35], s[30:31], v[44:45] neg_lo:[1,0,0] neg_hi:[1,0,0]
	v_pk_fma_f32 v[44:45], v[34:35], s[30:31], v[44:45] neg_lo:[0,0,1] neg_hi:[0,0,1]
	v_mov_b32_e32 v129, v135
	v_pk_add_f32 v[122:123], v[128:129], v[122:123]
	v_pk_fma_f32 v[128:129], v[40:41], s[8:9], v[62:63] neg_lo:[1,0,0] neg_hi:[1,0,0]
	v_mov_b32_e32 v135, v45
	v_pk_fma_f32 v[44:45], v[40:41], s[8:9], v[62:63] neg_lo:[0,0,1] neg_hi:[0,0,1]
	v_mov_b32_e32 v129, v137
	v_mov_b32_e32 v137, v45
	v_pk_fma_f32 v[44:45], v[2:3], s[10:11], v[56:57] neg_lo:[0,0,1] neg_hi:[0,0,1]
	v_pk_fma_f32 v[46:47], v[14:15], s[10:11], v[58:59] neg_lo:[0,0,1] neg_hi:[0,0,1]
	v_mov_b32_e32 v105, v45
	v_pk_fma_f32 v[44:45], v[8:9], s[24:25], v[108:109] neg_lo:[0,0,1] neg_hi:[0,0,1]
	v_mov_b32_e32 v131, v43
	v_pk_add_f32 v[42:43], v[126:127], v[0:1]
	v_mov_b32_e32 v133, v47
	v_mov_b32_e32 v113, v45
	v_pk_add_f32 v[44:45], v[104:105], v[0:1]
	v_pk_fma_f32 v[46:47], v[14:15], s[2:3], v[110:111] neg_lo:[0,0,1] neg_hi:[0,0,1]
	v_pk_add_f32 v[42:43], v[130:131], v[42:43]
	v_pk_add_f32 v[44:45], v[112:113], v[44:45]
	v_mov_b32_e32 v117, v47
	v_pk_fma_f32 v[46:47], v[34:35], s[12:13], v[114:115] neg_lo:[0,0,1] neg_hi:[0,0,1]
	v_pk_add_f32 v[42:43], v[132:133], v[42:43]
	v_pk_add_f32 v[44:45], v[116:117], v[44:45]
	v_mov_b32_e32 v121, v47
	;; [unrolled: 4-line block ×3, first 2 shown]
	v_pk_add_f32 v[42:43], v[136:137], v[42:43]
	v_pk_add_f32 v[44:45], v[124:125], v[44:45]
	ds_write2_b64 v27, v[42:43], v[44:45] offset0:96 offset1:112
	v_pk_fma_f32 v[44:45], v[14:15], s[30:31], v[92:93] neg_lo:[0,0,1] neg_hi:[0,0,1]
	v_pk_fma_f32 v[42:43], v[2:3], s[8:9], v[82:83] neg_lo:[0,0,1] neg_hi:[0,0,1]
	v_mov_b32_e32 v99, v45
	v_pk_fma_f32 v[44:45], v[34:35], s[2:3], v[96:97] neg_lo:[0,0,1] neg_hi:[0,0,1]
	v_mov_b32_e32 v89, v43
	v_mov_b32_e32 v103, v45
	v_pk_fma_f32 v[44:45], v[40:41], s[10:11], v[100:101] neg_lo:[0,0,1] neg_hi:[0,0,1]
	v_pk_fma_f32 v[42:43], v[8:9], s[20:21], v[90:91] neg_lo:[0,0,1] neg_hi:[0,0,1]
	v_mov_b32_e32 v107, v45
	v_pk_fma_f32 v[44:45], v[2:3], s[6:7], v[54:55] neg_lo:[0,0,1] neg_hi:[0,0,1]
	v_pk_fma_f32 v[2:3], v[2:3], s[2:3], v[6:7] neg_lo:[0,0,1] neg_hi:[0,0,1]
	v_mov_b32_e32 v65, v45
	v_mov_b32_e32 v5, v3
	v_pk_fma_f32 v[2:3], v[8:9], s[6:7], v[12:13] neg_lo:[0,0,1] neg_hi:[0,0,1]
	v_mov_b32_e32 v95, v43
	v_pk_add_f32 v[42:43], v[88:89], v[0:1]
	v_pk_add_f32 v[44:45], v[64:65], v[0:1]
	;; [unrolled: 1-line block ×3, first 2 shown]
	v_mov_b32_e32 v11, v3
	v_pk_fma_f32 v[2:3], v[14:15], s[8:9], v[32:33] neg_lo:[0,0,1] neg_hi:[0,0,1]
	v_pk_fma_f32 v[46:47], v[8:9], s[10:11], v[68:69] neg_lo:[0,0,1] neg_hi:[0,0,1]
	v_pk_add_f32 v[0:1], v[10:11], v[0:1]
	v_mov_b32_e32 v31, v3
	v_pk_fma_f32 v[2:3], v[34:35], s[10:11], v[38:39] neg_lo:[0,0,1] neg_hi:[0,0,1]
	v_mov_b32_e32 v73, v47
	v_pk_fma_f32 v[46:47], v[14:15], s[20:21], v[70:71] neg_lo:[0,0,1] neg_hi:[0,0,1]
	v_pk_add_f32 v[0:1], v[30:31], v[0:1]
	v_mov_b32_e32 v37, v3
	v_pk_fma_f32 v[2:3], v[40:41], s[12:13], v[60:61] neg_lo:[0,0,1] neg_hi:[0,0,1]
	v_pk_add_f32 v[42:43], v[94:95], v[42:43]
	v_pk_add_f32 v[44:45], v[72:73], v[44:45]
	v_mov_b32_e32 v77, v47
	v_pk_fma_f32 v[46:47], v[34:35], s[24:25], v[74:75] neg_lo:[0,0,1] neg_hi:[0,0,1]
	v_pk_add_f32 v[0:1], v[36:37], v[0:1]
	v_mov_b32_e32 v67, v3
	v_pk_add_f32 v[42:43], v[98:99], v[42:43]
	v_pk_add_f32 v[44:45], v[76:77], v[44:45]
	v_mov_b32_e32 v81, v47
	v_pk_fma_f32 v[46:47], v[40:41], s[28:29], v[78:79] neg_lo:[0,0,1] neg_hi:[0,0,1]
	v_pk_add_f32 v[0:1], v[66:67], v[0:1]
	v_pk_add_f32 v[42:43], v[102:103], v[42:43]
	;; [unrolled: 1-line block ×3, first 2 shown]
	v_mov_b32_e32 v85, v47
	ds_write_b64 v27, v[0:1] offset:1280
	v_mul_u32_u24_e32 v0, 10, v16
	v_pk_add_f32 v[122:123], v[128:129], v[122:123]
	v_pk_add_f32 v[42:43], v[106:107], v[42:43]
	;; [unrolled: 1-line block ×3, first 2 shown]
	v_lshlrev_b32_e32 v0, 3, v0
	ds_write2_b64 v27, v[86:87], v[122:123] offset0:64 offset1:80
	ds_write2_b64 v27, v[42:43], v[44:45] offset0:128 offset1:144
	s_waitcnt lgkmcnt(0)
	s_barrier
	global_load_dwordx4 v[6:9], v0, s[4:5] offset:1392
	global_load_dwordx4 v[10:13], v0, s[4:5] offset:1408
	;; [unrolled: 1-line block ×5, first 2 shown]
	ds_read_b64 v[0:1], v48
	ds_read_b64 v[2:3], v50
	;; [unrolled: 1-line block ×6, first 2 shown]
	ds_read_b64 v[62:63], v48 offset:14080
	ds_read2_b64 v[36:39], v25 offset0:32 offset1:208
	ds_read2_b64 v[54:57], v21 offset1:176
	v_add_u32_e32 v27, 0xa00, v48
	s_waitcnt lgkmcnt(0)
	s_barrier
	s_add_u32 s4, s4, 0x3c70
	s_addc_u32 s5, s5, 0
	s_waitcnt vmcnt(4)
	v_mul_f32_e32 v4, v7, v3
	v_mul_f32_e32 v5, v7, v2
	v_fma_f32 v4, v6, v2, -v4
	v_fmac_f32_e32 v5, v6, v3
	v_mov_b32_e32 v2, v9
	v_mov_b32_e32 v3, v8
	v_pk_mul_f32 v[2:3], v[2:3], v[58:59] op_sel:[0,1]
	s_nop 0
	v_pk_fma_f32 v[6:7], v[8:9], v[58:59], v[2:3] neg_lo:[0,0,1] neg_hi:[0,0,1]
	v_pk_fma_f32 v[2:3], v[8:9], v[58:59], v[2:3] op_sel_hi:[1,0,1]
	s_nop 0
	v_mov_b32_e32 v7, v3
	s_waitcnt vmcnt(3)
	v_pk_mul_f32 v[2:3], v[10:11], v[14:15] op_sel:[0,1]
	s_nop 0
	v_pk_fma_f32 v[8:9], v[10:11], v[14:15], v[2:3] op_sel:[0,0,1] op_sel_hi:[1,1,0] neg_lo:[0,0,1] neg_hi:[0,0,1]
	v_pk_fma_f32 v[2:3], v[10:11], v[14:15], v[2:3] op_sel:[0,0,1] op_sel_hi:[1,0,0]
	s_nop 0
	v_mov_b32_e32 v9, v3
	v_pk_mul_f32 v[2:3], v[12:13], v[30:31] op_sel:[0,1]
	s_nop 0
	v_pk_fma_f32 v[10:11], v[12:13], v[30:31], v[2:3] op_sel:[0,0,1] op_sel_hi:[1,1,0] neg_lo:[0,0,1] neg_hi:[0,0,1]
	v_pk_fma_f32 v[2:3], v[12:13], v[30:31], v[2:3] op_sel:[0,0,1] op_sel_hi:[1,0,0]
	s_nop 0
	v_mov_b32_e32 v11, v3
	s_waitcnt vmcnt(2)
	v_pk_mul_f32 v[2:3], v[32:33], v[60:61] op_sel:[0,1]
	s_nop 0
	v_pk_fma_f32 v[14:15], v[32:33], v[60:61], v[2:3] op_sel:[0,0,1] op_sel_hi:[1,1,0] neg_lo:[0,0,1] neg_hi:[0,0,1]
	v_pk_fma_f32 v[2:3], v[32:33], v[60:61], v[2:3] op_sel:[0,0,1] op_sel_hi:[1,0,0]
	s_nop 0
	v_mov_b32_e32 v2, v35
	v_mov_b32_e32 v15, v3
	v_pk_mul_f32 v[2:3], v[36:37], v[2:3] op_sel_hi:[1,0]
	s_nop 0
	v_pk_fma_f32 v[32:33], v[36:37], v[34:35], v[2:3] op_sel:[0,0,1] op_sel_hi:[1,1,0] neg_lo:[0,0,1] neg_hi:[0,0,1]
	v_pk_fma_f32 v[2:3], v[36:37], v[34:35], v[2:3] op_sel:[0,0,1] op_sel_hi:[1,0,0]
	s_nop 0
	v_mov_b32_e32 v33, v3
	s_waitcnt vmcnt(1)
	v_pk_mul_f32 v[2:3], v[38:39], v[40:41] op_sel:[0,1]
	v_pk_add_f32 v[64:65], v[14:15], v[32:33] neg_lo:[0,1] neg_hi:[0,1]
	v_pk_fma_f32 v[36:37], v[38:39], v[40:41], v[2:3] op_sel:[0,0,1] op_sel_hi:[1,1,0] neg_lo:[0,0,1] neg_hi:[0,0,1]
	v_pk_fma_f32 v[2:3], v[38:39], v[40:41], v[2:3] op_sel:[0,0,1] op_sel_hi:[1,0,0]
	s_nop 0
	v_mov_b32_e32 v2, v43
	v_mov_b32_e32 v37, v3
	v_pk_mul_f32 v[2:3], v[54:55], v[2:3] op_sel_hi:[1,0]
	v_pk_add_f32 v[38:39], v[10:11], v[36:37] neg_lo:[0,1] neg_hi:[0,1]
	v_pk_fma_f32 v[40:41], v[54:55], v[42:43], v[2:3] op_sel:[0,0,1] op_sel_hi:[1,1,0] neg_lo:[0,0,1] neg_hi:[0,0,1]
	v_pk_fma_f32 v[2:3], v[54:55], v[42:43], v[2:3] op_sel:[0,0,1] op_sel_hi:[1,0,0]
	s_nop 0
	v_mov_b32_e32 v41, v3
	s_waitcnt vmcnt(0)
	v_pk_mul_f32 v[2:3], v[56:57], v[44:45] op_sel:[0,1]
	v_pk_add_f32 v[60:61], v[8:9], v[40:41]
	v_pk_fma_f32 v[42:43], v[56:57], v[44:45], v[2:3] op_sel:[0,0,1] op_sel_hi:[1,1,0] neg_lo:[0,0,1] neg_hi:[0,0,1]
	v_pk_fma_f32 v[2:3], v[56:57], v[44:45], v[2:3] op_sel:[0,0,1] op_sel_hi:[1,0,0]
	v_pk_add_f32 v[34:35], v[8:9], v[40:41] neg_lo:[0,1] neg_hi:[0,1]
	v_mov_b32_e32 v2, v47
	v_mov_b32_e32 v43, v3
	v_pk_mul_f32 v[2:3], v[62:63], v[2:3] op_sel_hi:[1,0]
	v_pk_add_f32 v[58:59], v[6:7], v[42:43]
	v_pk_fma_f32 v[44:45], v[62:63], v[46:47], v[2:3] op_sel:[0,0,1] op_sel_hi:[1,0,0] neg_lo:[0,0,1] neg_hi:[0,0,1]
	v_pk_fma_f32 v[54:55], v[62:63], v[46:47], v[2:3] op_sel:[0,0,1] op_sel_hi:[1,0,0]
	v_add_f32_e32 v56, v4, v44
	v_sub_f32_e32 v57, v4, v44
	v_pk_add_f32 v[30:31], v[6:7], v[42:43] neg_lo:[0,1] neg_hi:[0,1]
	v_pk_add_f32 v[62:63], v[10:11], v[36:37]
	v_pk_add_f32 v[46:47], v[14:15], v[32:33]
	v_add_f32_e32 v3, v5, v55
	v_sub_f32_e32 v2, v5, v55
	v_mov_b32_e32 v12, v31
	v_mov_b32_e32 v13, v59
	;; [unrolled: 1-line block ×12, first 2 shown]
	v_pk_mul_f32 v[64:65], v[56:57], s[16:17]
	v_pk_mul_f32 v[70:71], v[58:59], s[22:23]
	v_pk_fma_f32 v[66:67], v[2:3], s[6:7], v[64:65] neg_lo:[1,0,0] neg_hi:[1,0,0]
	v_pk_fma_f32 v[68:69], v[2:3], s[6:7], v[64:65]
	v_pk_fma_f32 v[72:73], v[12:13], s[10:11], v[70:71] neg_lo:[1,0,0] neg_hi:[1,0,0]
	v_mov_b32_e32 v67, v69
	v_pk_fma_f32 v[74:75], v[12:13], s[10:11], v[70:71]
	v_pk_add_f32 v[66:67], v[66:67], v[0:1]
	v_mov_b32_e32 v73, v75
	v_pk_add_f32 v[66:67], v[72:73], v[66:67]
	v_pk_mul_f32 v[72:73], v[60:61], s[40:41]
	v_pk_mul_f32 v[92:93], v[58:59], s[40:41]
	v_pk_fma_f32 v[76:77], v[30:31], s[20:21], v[72:73] neg_lo:[1,0,0] neg_hi:[1,0,0]
	v_pk_fma_f32 v[78:79], v[30:31], s[20:21], v[72:73]
	v_pk_fma_f32 v[94:95], v[12:13], s[20:21], v[92:93] neg_lo:[1,0,0] neg_hi:[1,0,0]
	v_mov_b32_e32 v77, v79
	v_pk_add_f32 v[66:67], v[76:77], v[66:67]
	v_pk_mul_f32 v[76:77], v[62:63], s[38:39]
	v_pk_fma_f32 v[96:97], v[12:13], s[20:21], v[92:93]
	v_pk_fma_f32 v[80:81], v[34:35], s[24:25], v[76:77] neg_lo:[1,0,0] neg_hi:[1,0,0]
	v_pk_fma_f32 v[82:83], v[34:35], s[24:25], v[76:77]
	v_mov_b32_e32 v95, v97
	v_mov_b32_e32 v81, v83
	v_pk_add_f32 v[66:67], v[80:81], v[66:67]
	v_pk_mul_f32 v[80:81], v[46:47], s[34:35]
	v_pk_mul_f32 v[110:111], v[58:59], s[38:39]
	v_pk_fma_f32 v[84:85], v[38:39], s[28:29], v[80:81] neg_lo:[1,0,0] neg_hi:[1,0,0]
	v_pk_fma_f32 v[86:87], v[38:39], s[28:29], v[80:81]
	v_pk_fma_f32 v[112:113], v[12:13], s[24:25], v[110:111] neg_lo:[1,0,0] neg_hi:[1,0,0]
	v_mov_b32_e32 v85, v87
	v_pk_add_f32 v[66:67], v[84:85], v[66:67]
	v_pk_mul_f32 v[84:85], v[56:57], s[18:19]
	v_pk_fma_f32 v[114:115], v[12:13], s[24:25], v[110:111]
	v_pk_fma_f32 v[88:89], v[2:3], s[8:9], v[84:85] neg_lo:[1,0,0] neg_hi:[1,0,0]
	v_pk_fma_f32 v[90:91], v[2:3], s[8:9], v[84:85]
	v_mov_b32_e32 v113, v115
	v_mov_b32_e32 v89, v91
	v_pk_add_f32 v[88:89], v[88:89], v[0:1]
	v_pk_add_f32 v[4:5], v[4:5], v[0:1]
	;; [unrolled: 1-line block ×3, first 2 shown]
	v_pk_mul_f32 v[94:95], v[60:61], s[36:37]
	v_pk_add_f32 v[4:5], v[4:5], v[6:7]
	v_pk_fma_f32 v[98:99], v[30:31], s[30:31], v[94:95] neg_lo:[1,0,0] neg_hi:[1,0,0]
	v_pk_fma_f32 v[100:101], v[30:31], s[30:31], v[94:95]
	v_pk_add_f32 v[4:5], v[4:5], v[8:9]
	v_mov_b32_e32 v99, v101
	v_pk_add_f32 v[88:89], v[98:99], v[88:89]
	v_pk_mul_f32 v[98:99], v[62:63], s[14:15]
	v_pk_add_f32 v[4:5], v[4:5], v[10:11]
	v_pk_fma_f32 v[102:103], v[34:35], s[2:3], v[98:99] neg_lo:[1,0,0] neg_hi:[1,0,0]
	v_pk_fma_f32 v[104:105], v[34:35], s[2:3], v[98:99]
	v_pk_add_f32 v[4:5], v[4:5], v[14:15]
	v_mov_b32_e32 v103, v105
	v_pk_add_f32 v[88:89], v[102:103], v[88:89]
	v_pk_mul_f32 v[102:103], v[46:47], s[22:23]
	v_pk_mul_f32 v[6:7], v[56:57], s[14:15]
	v_pk_fma_f32 v[106:107], v[38:39], s[10:11], v[102:103] neg_lo:[1,0,0] neg_hi:[1,0,0]
	v_pk_fma_f32 v[108:109], v[38:39], s[10:11], v[102:103]
	v_pk_add_f32 v[4:5], v[4:5], v[32:33]
	v_mov_b32_e32 v107, v109
	v_pk_add_f32 v[88:89], v[106:107], v[88:89]
	ds_write2_b64 v27, v[66:67], v[88:89] offset0:32 offset1:208
	v_pk_mul_f32 v[66:67], v[56:57], s[22:23]
	v_pk_fma_f32 v[8:9], v[2:3], s[2:3], v[6:7] neg_lo:[1,0,0] neg_hi:[1,0,0]
	v_pk_fma_f32 v[88:89], v[2:3], s[10:11], v[66:67] neg_lo:[1,0,0] neg_hi:[1,0,0]
	v_pk_fma_f32 v[106:107], v[2:3], s[10:11], v[66:67]
	v_pk_fma_f32 v[10:11], v[2:3], s[2:3], v[6:7]
	v_mov_b32_e32 v89, v107
	v_pk_add_f32 v[88:89], v[88:89], v[0:1]
	v_pk_mul_f32 v[14:15], v[58:59], s[16:17]
	v_pk_add_f32 v[88:89], v[112:113], v[88:89]
	v_pk_mul_f32 v[112:113], v[60:61], s[14:15]
	v_pk_mul_f32 v[132:133], v[58:59], s[34:35]
	v_pk_fma_f32 v[116:117], v[30:31], s[2:3], v[112:113] neg_lo:[1,0,0] neg_hi:[1,0,0]
	v_pk_fma_f32 v[118:119], v[30:31], s[2:3], v[112:113]
	v_pk_add_f32 v[4:5], v[4:5], v[36:37]
	v_mov_b32_e32 v117, v119
	v_pk_add_f32 v[88:89], v[116:117], v[88:89]
	v_pk_mul_f32 v[116:117], v[62:63], s[26:27]
	v_mov_b32_e32 v9, v11
	v_pk_fma_f32 v[120:121], v[34:35], s[12:13], v[116:117] neg_lo:[1,0,0] neg_hi:[1,0,0]
	v_pk_fma_f32 v[122:123], v[34:35], s[12:13], v[116:117]
	v_pk_fma_f32 v[32:33], v[12:13], s[6:7], v[14:15] neg_lo:[1,0,0] neg_hi:[1,0,0]
	v_mov_b32_e32 v121, v123
	v_pk_add_f32 v[88:89], v[120:121], v[88:89]
	v_pk_mul_f32 v[120:121], v[46:47], s[36:37]
	v_pk_fma_f32 v[36:37], v[12:13], s[6:7], v[14:15]
	v_pk_fma_f32 v[124:125], v[38:39], s[30:31], v[120:121] neg_lo:[1,0,0] neg_hi:[1,0,0]
	v_pk_fma_f32 v[126:127], v[38:39], s[30:31], v[120:121]
	v_pk_fma_f32 v[134:135], v[12:13], s[28:29], v[132:133] neg_lo:[1,0,0] neg_hi:[1,0,0]
	v_mov_b32_e32 v125, v127
	v_pk_add_f32 v[88:89], v[124:125], v[88:89]
	v_pk_mul_f32 v[124:125], v[56:57], s[26:27]
	v_pk_fma_f32 v[136:137], v[12:13], s[28:29], v[132:133]
	v_pk_fma_f32 v[128:129], v[2:3], s[12:13], v[124:125] neg_lo:[1,0,0] neg_hi:[1,0,0]
	v_pk_fma_f32 v[130:131], v[2:3], s[12:13], v[124:125]
	v_pk_add_f32 v[8:9], v[8:9], v[0:1]
	v_mov_b32_e32 v129, v131
	v_mov_b32_e32 v33, v37
	v_pk_add_f32 v[128:129], v[128:129], v[0:1]
	v_mov_b32_e32 v135, v137
	v_pk_add_f32 v[4:5], v[4:5], v[40:41]
	v_pk_add_f32 v[8:9], v[32:33], v[8:9]
	v_pk_mul_f32 v[32:33], v[60:61], s[18:19]
	v_pk_add_f32 v[128:129], v[134:135], v[128:129]
	v_pk_mul_f32 v[134:135], v[60:61], s[22:23]
	v_pk_add_f32 v[4:5], v[4:5], v[42:43]
	v_pk_fma_f32 v[40:41], v[30:31], s[8:9], v[32:33] neg_lo:[1,0,0] neg_hi:[1,0,0]
	v_pk_fma_f32 v[42:43], v[30:31], s[8:9], v[32:33]
	v_pk_fma_f32 v[138:139], v[30:31], s[10:11], v[134:135] neg_lo:[1,0,0] neg_hi:[1,0,0]
	v_pk_fma_f32 v[140:141], v[30:31], s[10:11], v[134:135]
	v_mov_b32_e32 v41, v43
	v_mov_b32_e32 v139, v141
	;; [unrolled: 1-line block ×3, first 2 shown]
	v_pk_add_f32 v[8:9], v[40:41], v[8:9]
	v_pk_mul_f32 v[40:41], v[62:63], s[22:23]
	v_pk_add_f32 v[128:129], v[138:139], v[128:129]
	v_pk_mul_f32 v[138:139], v[62:63], s[36:37]
	v_pk_add_f32 v[4:5], v[4:5], v[44:45]
	v_pk_fma_f32 v[44:45], v[34:35], s[10:11], v[40:41] neg_lo:[1,0,0] neg_hi:[1,0,0]
	v_pk_fma_f32 v[54:55], v[34:35], s[10:11], v[40:41]
	v_pk_fma_f32 v[142:143], v[34:35], s[30:31], v[138:139] neg_lo:[1,0,0] neg_hi:[1,0,0]
	v_pk_fma_f32 v[144:145], v[34:35], s[30:31], v[138:139]
	v_mov_b32_e32 v45, v55
	v_mov_b32_e32 v143, v145
	v_pk_add_f32 v[8:9], v[44:45], v[8:9]
	v_pk_mul_f32 v[44:45], v[46:47], s[26:27]
	v_pk_add_f32 v[128:129], v[142:143], v[128:129]
	v_pk_mul_f32 v[142:143], v[46:47], s[18:19]
	v_pk_fma_f32 v[46:47], v[38:39], s[12:13], v[44:45] neg_lo:[1,0,0] neg_hi:[1,0,0]
	v_pk_fma_f32 v[56:57], v[38:39], s[12:13], v[44:45]
	v_pk_fma_f32 v[146:147], v[38:39], s[8:9], v[142:143] neg_lo:[1,0,0] neg_hi:[1,0,0]
	v_mov_b32_e32 v47, v57
	v_pk_add_f32 v[8:9], v[46:47], v[8:9]
	v_pk_fma_f32 v[148:149], v[38:39], s[8:9], v[142:143]
	ds_write2_b64 v48, v[4:5], v[8:9] offset1:176
	v_pk_fma_f32 v[8:9], v[30:31], s[30:31], v[94:95] neg_lo:[0,0,1] neg_hi:[0,0,1]
	v_mov_b32_e32 v147, v149
	v_mov_b32_e32 v101, v9
	v_pk_fma_f32 v[8:9], v[34:35], s[2:3], v[98:99] neg_lo:[0,0,1] neg_hi:[0,0,1]
	v_pk_add_f32 v[128:129], v[146:147], v[128:129]
	v_add_u32_e32 v27, 0x1400, v48
	v_mov_b32_e32 v105, v9
	v_pk_fma_f32 v[8:9], v[38:39], s[10:11], v[102:103] neg_lo:[0,0,1] neg_hi:[0,0,1]
	ds_write2_b64 v27, v[88:89], v[128:129] offset0:64 offset1:240
	v_pk_fma_f32 v[88:89], v[2:3], s[12:13], v[124:125] neg_lo:[0,0,1] neg_hi:[0,0,1]
	v_pk_fma_f32 v[66:67], v[2:3], s[10:11], v[66:67] neg_lo:[0,0,1] neg_hi:[0,0,1]
	;; [unrolled: 1-line block ×3, first 2 shown]
	v_mov_b32_e32 v109, v9
	v_pk_fma_f32 v[8:9], v[2:3], s[6:7], v[64:65] neg_lo:[0,0,1] neg_hi:[0,0,1]
	v_pk_fma_f32 v[2:3], v[2:3], s[2:3], v[6:7] neg_lo:[0,0,1] neg_hi:[0,0,1]
	v_mov_b32_e32 v131, v89
	v_pk_fma_f32 v[88:89], v[12:13], s[28:29], v[132:133] neg_lo:[0,0,1] neg_hi:[0,0,1]
	v_mov_b32_e32 v107, v67
	;; [unrolled: 2-line block ×6, first 2 shown]
	v_pk_add_f32 v[88:89], v[130:131], v[0:1]
	v_pk_fma_f32 v[124:125], v[30:31], s[10:11], v[134:135] neg_lo:[0,0,1] neg_hi:[0,0,1]
	v_mov_b32_e32 v115, v67
	v_pk_add_f32 v[66:67], v[106:107], v[0:1]
	v_pk_fma_f32 v[106:107], v[30:31], s[2:3], v[112:113] neg_lo:[0,0,1] neg_hi:[0,0,1]
	v_mov_b32_e32 v97, v5
	v_pk_add_f32 v[4:5], v[90:91], v[0:1]
	v_pk_add_f32 v[8:9], v[68:69], v[0:1]
	v_mov_b32_e32 v75, v47
	v_pk_fma_f32 v[46:47], v[30:31], s[20:21], v[72:73] neg_lo:[0,0,1] neg_hi:[0,0,1]
	v_pk_add_f32 v[0:1], v[10:11], v[0:1]
	v_mov_b32_e32 v37, v3
	v_pk_fma_f32 v[2:3], v[30:31], s[8:9], v[32:33] neg_lo:[0,0,1] neg_hi:[0,0,1]
	;; [unrolled: 3-line block ×4, first 2 shown]
	v_pk_add_f32 v[4:5], v[96:97], v[4:5]
	v_pk_add_f32 v[8:9], v[74:75], v[8:9]
	v_mov_b32_e32 v79, v47
	v_pk_fma_f32 v[46:47], v[34:35], s[24:25], v[76:77] neg_lo:[0,0,1] neg_hi:[0,0,1]
	v_pk_add_f32 v[0:1], v[36:37], v[0:1]
	v_mov_b32_e32 v43, v3
	v_pk_fma_f32 v[2:3], v[34:35], s[10:11], v[40:41] neg_lo:[0,0,1] neg_hi:[0,0,1]
	;; [unrolled: 3-line block ×4, first 2 shown]
	v_pk_add_f32 v[4:5], v[100:101], v[4:5]
	v_pk_add_f32 v[8:9], v[78:79], v[8:9]
	v_mov_b32_e32 v83, v47
	v_pk_fma_f32 v[46:47], v[38:39], s[28:29], v[80:81] neg_lo:[0,0,1] neg_hi:[0,0,1]
	v_pk_add_f32 v[0:1], v[42:43], v[0:1]
	v_mov_b32_e32 v55, v3
	v_pk_fma_f32 v[2:3], v[38:39], s[12:13], v[44:45] neg_lo:[0,0,1] neg_hi:[0,0,1]
	v_pk_add_f32 v[88:89], v[144:145], v[88:89]
	v_mov_b32_e32 v149, v125
	v_pk_add_f32 v[66:67], v[122:123], v[66:67]
	v_mov_b32_e32 v127, v107
	v_pk_add_f32 v[4:5], v[104:105], v[4:5]
	v_pk_add_f32 v[8:9], v[82:83], v[8:9]
	v_mov_b32_e32 v87, v47
	v_pk_add_f32 v[0:1], v[54:55], v[0:1]
	v_mov_b32_e32 v57, v3
	v_pk_add_f32 v[88:89], v[148:149], v[88:89]
	v_pk_add_f32 v[66:67], v[126:127], v[66:67]
	;; [unrolled: 1-line block ×5, first 2 shown]
	ds_write2_b64 v25, v[88:89], v[66:67] offset0:32 offset1:208
	ds_write2_b64 v21, v[4:5], v[8:9] offset1:176
	ds_write_b64 v48, v[0:1] offset:14080
	s_waitcnt lgkmcnt(0)
	s_barrier
	ds_read_b64 v[4:5], v48
	v_sub_u32_e32 v6, 0, v17
	v_cmp_ne_u32_e64 s[2:3], 0, v16
                                        ; implicit-def: $vgpr2_vgpr3
                                        ; implicit-def: $vgpr1
	s_and_saveexec_b64 s[6:7], s[2:3]
	s_xor_b64 s[2:3], exec, s[6:7]
	s_cbranch_execz .LBB0_25
; %bb.24:
	v_mov_b32_e32 v17, 0
	v_lshl_add_u64 v[0:1], v[16:17], 3, s[4:5]
	global_load_dwordx2 v[2:3], v[0:1], off
	ds_read_b64 v[0:1], v6 offset:15488
	v_mov_b32_e32 v9, 0.5
	v_mov_b32_e32 v10, v9
	s_waitcnt lgkmcnt(0)
	v_pk_add_f32 v[12:13], v[0:1], v[4:5]
	v_pk_add_f32 v[0:1], v[4:5], v[0:1] neg_lo:[0,1] neg_hi:[0,1]
	v_mov_b32_e32 v4, v13
	v_mov_b32_e32 v5, v0
	v_pk_mul_f32 v[4:5], v[4:5], 0.5 op_sel_hi:[1,0]
	s_waitcnt vmcnt(0)
	v_mov_b32_e32 v8, v3
	v_mov_b32_e32 v0, v5
	;; [unrolled: 1-line block ×4, first 2 shown]
	v_pk_mul_f32 v[0:1], v[8:9], v[0:1]
	v_pk_mul_f32 v[14:15], v[2:3], v[4:5] op_sel_hi:[0,1]
	v_pk_fma_f32 v[8:9], v[12:13], v[10:11], v[0:1]
	v_pk_fma_f32 v[10:11], v[12:13], v[10:11], v[0:1] neg_lo:[0,0,1] neg_hi:[0,0,1]
	v_add_f32_e32 v0, v14, v8
	v_sub_f32_e32 v1, v9, v15
	ds_write_b32 v48, v0
	v_pk_fma_f32 v[2:3], v[2:3], v[4:5], v[10:11] op_sel_hi:[0,1,1] neg_lo:[1,0,0] neg_hi:[1,0,0]
                                        ; implicit-def: $vgpr4_vgpr5
.LBB0_25:
	s_andn2_saveexec_b64 s[2:3], s[2:3]
	s_cbranch_execz .LBB0_27
; %bb.26:
	s_waitcnt lgkmcnt(0)
	v_mov_b32_e32 v0, v5
	v_pk_add_f32 v[0:1], v[4:5], v[0:1] neg_lo:[0,1] neg_hi:[0,1]
	v_add_f32_e32 v3, v5, v4
	v_mov_b32_e32 v1, 0
	ds_read_b32 v2, v1 offset:7748
	ds_write_b32 v48, v3
	s_waitcnt lgkmcnt(1)
	v_xor_b32_e32 v2, 0x80000000, v2
	ds_write_b32 v1, v2 offset:7748
	v_mov_b64_e32 v[2:3], v[0:1]
.LBB0_27:
	s_or_b64 exec, exec, s[2:3]
	v_mov_b32_e32 v21, 0
	s_waitcnt lgkmcnt(0)
	v_lshl_add_u64 v[4:5], v[20:21], 3, s[4:5]
	global_load_dwordx2 v[4:5], v[4:5], off
	v_mov_b32_e32 v29, v21
	v_lshl_add_u64 v[8:9], v[28:29], 3, s[4:5]
	global_load_dwordx2 v[8:9], v[8:9], off
	v_mov_b32_e32 v27, v21
	;; [unrolled: 3-line block ×3, first 2 shown]
	v_lshl_add_u64 v[12:13], v[24:25], 3, s[4:5]
	global_load_dwordx2 v[12:13], v[12:13], off
	ds_write_b32 v48, v1 offset:4
	ds_write_b64 v6, v[2:3] offset:15488
	ds_read_b64 v[2:3], v50
	ds_read_b64 v[14:15], v6 offset:14080
	v_mov_b32_e32 v1, 0.5
	v_mov_b32_e32 v24, v1
	s_waitcnt lgkmcnt(0)
	v_pk_add_f32 v[26:27], v[2:3], v[14:15]
	v_pk_add_f32 v[2:3], v[2:3], v[14:15] neg_lo:[0,1] neg_hi:[0,1]
	v_mov_b32_e32 v14, v27
	v_mov_b32_e32 v15, v2
	v_pk_mul_f32 v[14:15], v[14:15], 0.5 op_sel_hi:[1,0]
	s_waitcnt vmcnt(3)
	v_mov_b32_e32 v0, v5
	v_mov_b32_e32 v2, v15
	;; [unrolled: 1-line block ×4, first 2 shown]
	v_pk_mul_f32 v[2:3], v[0:1], v[2:3]
	s_waitcnt vmcnt(2)
	v_mov_b32_e32 v0, v9
	v_pk_fma_f32 v[28:29], v[26:27], v[24:25], v[2:3]
	v_pk_fma_f32 v[2:3], v[26:27], v[24:25], v[2:3] neg_lo:[0,0,1] neg_hi:[0,0,1]
	v_pk_fma_f32 v[24:25], v[4:5], v[14:15], v[28:29]
	v_pk_fma_f32 v[26:27], v[4:5], v[14:15], v[28:29] op_sel_hi:[0,1,1] neg_lo:[1,0,0] neg_hi:[1,0,0]
	v_mov_b32_e32 v25, v27
	v_pk_fma_f32 v[2:3], v[4:5], v[14:15], v[2:3] op_sel_hi:[0,1,1] neg_lo:[1,0,0] neg_hi:[1,0,0]
	ds_write_b64 v50, v[24:25]
	ds_write_b64 v6, v[2:3] offset:14080
	ds_read_b64 v[2:3], v23
	ds_read_b64 v[4:5], v6 offset:12672
	v_mov_b32_e32 v14, v1
	v_mov_b32_e32 v15, v9
	s_waitcnt lgkmcnt(0)
	v_pk_add_f32 v[24:25], v[2:3], v[4:5]
	v_pk_add_f32 v[2:3], v[2:3], v[4:5] neg_lo:[0,1] neg_hi:[0,1]
	v_mov_b32_e32 v4, v25
	v_mov_b32_e32 v5, v2
	v_pk_mul_f32 v[4:5], v[4:5], 0.5 op_sel_hi:[1,0]
	s_nop 0
	v_mov_b32_e32 v2, v5
	v_mov_b32_e32 v25, v4
	v_pk_mul_f32 v[2:3], v[0:1], v[2:3]
	s_waitcnt vmcnt(1)
	v_mov_b32_e32 v0, v11
	v_pk_fma_f32 v[26:27], v[24:25], v[14:15], v[2:3]
	v_pk_fma_f32 v[2:3], v[24:25], v[14:15], v[2:3] neg_lo:[0,0,1] neg_hi:[0,0,1]
	v_pk_fma_f32 v[14:15], v[8:9], v[4:5], v[26:27]
	v_pk_fma_f32 v[24:25], v[8:9], v[4:5], v[26:27] op_sel_hi:[0,1,1] neg_lo:[1,0,0] neg_hi:[1,0,0]
	v_mov_b32_e32 v15, v25
	v_pk_fma_f32 v[2:3], v[8:9], v[4:5], v[2:3] op_sel_hi:[0,1,1] neg_lo:[1,0,0] neg_hi:[1,0,0]
	ds_write_b64 v23, v[14:15]
	ds_write_b64 v6, v[2:3] offset:12672
	ds_read_b64 v[2:3], v52
	ds_read_b64 v[4:5], v6 offset:11264
	v_mov_b32_e32 v8, v1
	v_mov_b32_e32 v9, v11
	s_waitcnt lgkmcnt(0)
	v_pk_add_f32 v[14:15], v[2:3], v[4:5]
	v_pk_add_f32 v[2:3], v[2:3], v[4:5] neg_lo:[0,1] neg_hi:[0,1]
	v_mov_b32_e32 v4, v15
	v_mov_b32_e32 v5, v2
	v_pk_mul_f32 v[4:5], v[4:5], 0.5 op_sel_hi:[1,0]
	s_nop 0
	v_mov_b32_e32 v2, v5
	v_mov_b32_e32 v15, v4
	;; [unrolled: 24-line block ×3, first 2 shown]
	v_pk_mul_f32 v[2:3], v[0:1], v[2:3]
	s_nop 0
	v_pk_fma_f32 v[14:15], v[10:11], v[8:9], v[2:3]
	v_pk_fma_f32 v[2:3], v[10:11], v[8:9], v[2:3] neg_lo:[0,0,1] neg_hi:[0,0,1]
	v_pk_fma_f32 v[8:9], v[12:13], v[4:5], v[14:15]
	v_pk_fma_f32 v[10:11], v[12:13], v[4:5], v[14:15] op_sel_hi:[0,1,1] neg_lo:[1,0,0] neg_hi:[1,0,0]
	v_mov_b32_e32 v9, v11
	v_pk_fma_f32 v[2:3], v[12:13], v[4:5], v[2:3] op_sel_hi:[0,1,1] neg_lo:[1,0,0] neg_hi:[1,0,0]
	ds_write_b64 v51, v[8:9]
	ds_write_b64 v6, v[2:3] offset:9856
	s_and_saveexec_b64 s[2:3], vcc
	s_cbranch_execz .LBB0_29
; %bb.28:
	v_mov_b32_e32 v23, v21
	v_lshl_add_u64 v[2:3], v[22:23], 3, s[4:5]
	global_load_dwordx2 v[2:3], v[2:3], off
	ds_read_b64 v[4:5], v49
	ds_read_b64 v[8:9], v6 offset:8448
	v_mov_b32_e32 v10, v1
	s_waitcnt lgkmcnt(0)
	v_pk_add_f32 v[12:13], v[4:5], v[8:9]
	v_pk_add_f32 v[4:5], v[4:5], v[8:9] neg_lo:[0,1] neg_hi:[0,1]
	v_mov_b32_e32 v8, v13
	v_mov_b32_e32 v9, v4
	v_pk_mul_f32 v[8:9], v[8:9], 0.5 op_sel_hi:[1,0]
	s_waitcnt vmcnt(0)
	v_mov_b32_e32 v0, v3
	v_mov_b32_e32 v4, v9
	;; [unrolled: 1-line block ×4, first 2 shown]
	v_pk_mul_f32 v[0:1], v[0:1], v[4:5]
	s_nop 0
	v_pk_fma_f32 v[4:5], v[12:13], v[10:11], v[0:1]
	v_pk_fma_f32 v[0:1], v[12:13], v[10:11], v[0:1] neg_lo:[0,0,1] neg_hi:[0,0,1]
	v_pk_fma_f32 v[10:11], v[2:3], v[8:9], v[4:5]
	v_pk_fma_f32 v[4:5], v[2:3], v[8:9], v[4:5] op_sel_hi:[0,1,1] neg_lo:[1,0,0] neg_hi:[1,0,0]
	v_mov_b32_e32 v11, v5
	v_pk_fma_f32 v[0:1], v[2:3], v[8:9], v[0:1] op_sel_hi:[0,1,1] neg_lo:[1,0,0] neg_hi:[1,0,0]
	ds_write_b64 v49, v[10:11]
	ds_write_b64 v6, v[0:1] offset:8448
.LBB0_29:
	s_or_b64 exec, exec, s[2:3]
	s_waitcnt lgkmcnt(0)
	s_barrier
	s_and_saveexec_b64 s[2:3], s[0:1]
	s_cbranch_execz .LBB0_32
; %bb.30:
	ds_read2_b64 v[0:3], v48 offset1:176
	v_add_u32_e32 v4, 0xa00, v48
	ds_read2_b64 v[4:7], v4 offset0:32 offset1:208
	v_mov_b32_e32 v17, 0
	v_lshl_add_u64 v[8:9], v[16:17], 3, v[18:19]
	s_waitcnt lgkmcnt(1)
	global_store_dwordx2 v[8:9], v[0:1], off
	global_store_dwordx2 v[8:9], v[2:3], off offset:1408
	s_waitcnt lgkmcnt(0)
	global_store_dwordx2 v[8:9], v[4:5], off offset:2816
	v_add_u32_e32 v0, 0x1400, v48
	ds_read2_b64 v[0:3], v0 offset0:64 offset1:240
	v_add_co_u32_e32 v4, vcc, 0x1000, v8
	s_movk_i32 s0, 0xaf
	s_nop 0
	v_addc_co_u32_e32 v5, vcc, 0, v9, vcc
	global_store_dwordx2 v[4:5], v[6:7], off offset:128
	s_waitcnt lgkmcnt(0)
	global_store_dwordx2 v[4:5], v[0:1], off offset:1536
	global_store_dwordx2 v[4:5], v[2:3], off offset:2944
	v_add_u32_e32 v0, 0x2000, v48
	ds_read2_b64 v[0:3], v0 offset0:32 offset1:208
	v_add_u32_e32 v4, 0x2c00, v48
	ds_read2_b64 v[4:7], v4 offset1:176
	v_add_co_u32_e32 v10, vcc, 0x2000, v8
	s_nop 1
	v_addc_co_u32_e32 v11, vcc, 0, v9, vcc
	s_waitcnt lgkmcnt(1)
	global_store_dwordx2 v[10:11], v[0:1], off offset:256
	global_store_dwordx2 v[10:11], v[2:3], off offset:1664
	s_waitcnt lgkmcnt(0)
	global_store_dwordx2 v[10:11], v[4:5], off offset:3072
	ds_read_b64 v[2:3], v48 offset:14080
	v_add_co_u32_e32 v0, vcc, 0x3000, v8
	s_nop 1
	v_addc_co_u32_e32 v1, vcc, 0, v9, vcc
	v_cmp_eq_u32_e32 vcc, s0, v16
	global_store_dwordx2 v[0:1], v[6:7], off offset:384
	s_waitcnt lgkmcnt(0)
	global_store_dwordx2 v[0:1], v[2:3], off offset:1792
	s_and_b64 exec, exec, vcc
	s_cbranch_execz .LBB0_32
; %bb.31:
	ds_read_b64 v[0:1], v17 offset:15488
	v_add_co_u32_e32 v2, vcc, 0x3000, v18
	s_nop 1
	v_addc_co_u32_e32 v3, vcc, 0, v19, vcc
	s_waitcnt lgkmcnt(0)
	global_store_dwordx2 v[2:3], v[0:1], off offset:3200
.LBB0_32:
	s_endpgm
	.section	.rodata,"a",@progbits
	.p2align	6, 0x0
	.amdhsa_kernel fft_rtc_fwd_len1936_factors_2_2_4_11_11_wgs_176_tpt_176_sp_ip_CI_unitstride_sbrr_R2C_dirReg
		.amdhsa_group_segment_fixed_size 0
		.amdhsa_private_segment_fixed_size 0
		.amdhsa_kernarg_size 88
		.amdhsa_user_sgpr_count 2
		.amdhsa_user_sgpr_dispatch_ptr 0
		.amdhsa_user_sgpr_queue_ptr 0
		.amdhsa_user_sgpr_kernarg_segment_ptr 1
		.amdhsa_user_sgpr_dispatch_id 0
		.amdhsa_user_sgpr_kernarg_preload_length 0
		.amdhsa_user_sgpr_kernarg_preload_offset 0
		.amdhsa_user_sgpr_private_segment_size 0
		.amdhsa_uses_dynamic_stack 0
		.amdhsa_enable_private_segment 0
		.amdhsa_system_sgpr_workgroup_id_x 1
		.amdhsa_system_sgpr_workgroup_id_y 0
		.amdhsa_system_sgpr_workgroup_id_z 0
		.amdhsa_system_sgpr_workgroup_info 0
		.amdhsa_system_vgpr_workitem_id 0
		.amdhsa_next_free_vgpr 150
		.amdhsa_next_free_sgpr 42
		.amdhsa_accum_offset 152
		.amdhsa_reserve_vcc 1
		.amdhsa_float_round_mode_32 0
		.amdhsa_float_round_mode_16_64 0
		.amdhsa_float_denorm_mode_32 3
		.amdhsa_float_denorm_mode_16_64 3
		.amdhsa_dx10_clamp 1
		.amdhsa_ieee_mode 1
		.amdhsa_fp16_overflow 0
		.amdhsa_tg_split 0
		.amdhsa_exception_fp_ieee_invalid_op 0
		.amdhsa_exception_fp_denorm_src 0
		.amdhsa_exception_fp_ieee_div_zero 0
		.amdhsa_exception_fp_ieee_overflow 0
		.amdhsa_exception_fp_ieee_underflow 0
		.amdhsa_exception_fp_ieee_inexact 0
		.amdhsa_exception_int_div_zero 0
	.end_amdhsa_kernel
	.text
.Lfunc_end0:
	.size	fft_rtc_fwd_len1936_factors_2_2_4_11_11_wgs_176_tpt_176_sp_ip_CI_unitstride_sbrr_R2C_dirReg, .Lfunc_end0-fft_rtc_fwd_len1936_factors_2_2_4_11_11_wgs_176_tpt_176_sp_ip_CI_unitstride_sbrr_R2C_dirReg
                                        ; -- End function
	.section	.AMDGPU.csdata,"",@progbits
; Kernel info:
; codeLenInByte = 9380
; NumSgprs: 48
; NumVgprs: 150
; NumAgprs: 0
; TotalNumVgprs: 150
; ScratchSize: 0
; MemoryBound: 0
; FloatMode: 240
; IeeeMode: 1
; LDSByteSize: 0 bytes/workgroup (compile time only)
; SGPRBlocks: 5
; VGPRBlocks: 18
; NumSGPRsForWavesPerEU: 48
; NumVGPRsForWavesPerEU: 150
; AccumOffset: 152
; Occupancy: 3
; WaveLimiterHint : 1
; COMPUTE_PGM_RSRC2:SCRATCH_EN: 0
; COMPUTE_PGM_RSRC2:USER_SGPR: 2
; COMPUTE_PGM_RSRC2:TRAP_HANDLER: 0
; COMPUTE_PGM_RSRC2:TGID_X_EN: 1
; COMPUTE_PGM_RSRC2:TGID_Y_EN: 0
; COMPUTE_PGM_RSRC2:TGID_Z_EN: 0
; COMPUTE_PGM_RSRC2:TIDIG_COMP_CNT: 0
; COMPUTE_PGM_RSRC3_GFX90A:ACCUM_OFFSET: 37
; COMPUTE_PGM_RSRC3_GFX90A:TG_SPLIT: 0
	.text
	.p2alignl 6, 3212836864
	.fill 256, 4, 3212836864
	.type	__hip_cuid_297b93798212937c,@object ; @__hip_cuid_297b93798212937c
	.section	.bss,"aw",@nobits
	.globl	__hip_cuid_297b93798212937c
__hip_cuid_297b93798212937c:
	.byte	0                               ; 0x0
	.size	__hip_cuid_297b93798212937c, 1

	.ident	"AMD clang version 19.0.0git (https://github.com/RadeonOpenCompute/llvm-project roc-6.4.0 25133 c7fe45cf4b819c5991fe208aaa96edf142730f1d)"
	.section	".note.GNU-stack","",@progbits
	.addrsig
	.addrsig_sym __hip_cuid_297b93798212937c
	.amdgpu_metadata
---
amdhsa.kernels:
  - .agpr_count:     0
    .args:
      - .actual_access:  read_only
        .address_space:  global
        .offset:         0
        .size:           8
        .value_kind:     global_buffer
      - .offset:         8
        .size:           8
        .value_kind:     by_value
      - .actual_access:  read_only
        .address_space:  global
        .offset:         16
        .size:           8
        .value_kind:     global_buffer
      - .actual_access:  read_only
        .address_space:  global
        .offset:         24
        .size:           8
        .value_kind:     global_buffer
      - .offset:         32
        .size:           8
        .value_kind:     by_value
      - .actual_access:  read_only
        .address_space:  global
        .offset:         40
        .size:           8
        .value_kind:     global_buffer
      - .actual_access:  read_only
        .address_space:  global
        .offset:         48
        .size:           8
        .value_kind:     global_buffer
      - .offset:         56
        .size:           4
        .value_kind:     by_value
      - .actual_access:  read_only
        .address_space:  global
        .offset:         64
        .size:           8
        .value_kind:     global_buffer
      - .actual_access:  read_only
        .address_space:  global
        .offset:         72
        .size:           8
        .value_kind:     global_buffer
      - .address_space:  global
        .offset:         80
        .size:           8
        .value_kind:     global_buffer
    .group_segment_fixed_size: 0
    .kernarg_segment_align: 8
    .kernarg_segment_size: 88
    .language:       OpenCL C
    .language_version:
      - 2
      - 0
    .max_flat_workgroup_size: 176
    .name:           fft_rtc_fwd_len1936_factors_2_2_4_11_11_wgs_176_tpt_176_sp_ip_CI_unitstride_sbrr_R2C_dirReg
    .private_segment_fixed_size: 0
    .sgpr_count:     48
    .sgpr_spill_count: 0
    .symbol:         fft_rtc_fwd_len1936_factors_2_2_4_11_11_wgs_176_tpt_176_sp_ip_CI_unitstride_sbrr_R2C_dirReg.kd
    .uniform_work_group_size: 1
    .uses_dynamic_stack: false
    .vgpr_count:     150
    .vgpr_spill_count: 0
    .wavefront_size: 64
amdhsa.target:   amdgcn-amd-amdhsa--gfx950
amdhsa.version:
  - 1
  - 2
...

	.end_amdgpu_metadata
